;; amdgpu-corpus repo=ROCm/rocFFT kind=compiled arch=gfx1201 opt=O3
	.text
	.amdgcn_target "amdgcn-amd-amdhsa--gfx1201"
	.amdhsa_code_object_version 6
	.protected	fft_rtc_fwd_len3000_factors_10_3_10_10_wgs_100_tpt_100_halfLds_dp_ip_CI_unitstride_sbrr_dirReg ; -- Begin function fft_rtc_fwd_len3000_factors_10_3_10_10_wgs_100_tpt_100_halfLds_dp_ip_CI_unitstride_sbrr_dirReg
	.globl	fft_rtc_fwd_len3000_factors_10_3_10_10_wgs_100_tpt_100_halfLds_dp_ip_CI_unitstride_sbrr_dirReg
	.p2align	8
	.type	fft_rtc_fwd_len3000_factors_10_3_10_10_wgs_100_tpt_100_halfLds_dp_ip_CI_unitstride_sbrr_dirReg,@function
fft_rtc_fwd_len3000_factors_10_3_10_10_wgs_100_tpt_100_halfLds_dp_ip_CI_unitstride_sbrr_dirReg: ; @fft_rtc_fwd_len3000_factors_10_3_10_10_wgs_100_tpt_100_halfLds_dp_ip_CI_unitstride_sbrr_dirReg
; %bb.0:
	s_clause 0x2
	s_load_b128 s[4:7], s[0:1], 0x0
	s_load_b64 s[8:9], s[0:1], 0x50
	s_load_b64 s[10:11], s[0:1], 0x18
	v_mul_u32_u24_e32 v1, 0x290, v0
	v_mov_b32_e32 v3, 0
	s_delay_alu instid0(VALU_DEP_2) | instskip(NEXT) | instid1(VALU_DEP_1)
	v_lshrrev_b32_e32 v1, 16, v1
	v_add_nc_u32_e32 v5, ttmp9, v1
	v_mov_b32_e32 v1, 0
	v_mov_b32_e32 v2, 0
	;; [unrolled: 1-line block ×3, first 2 shown]
	s_wait_kmcnt 0x0
	v_cmp_lt_u64_e64 s2, s[6:7], 2
	s_delay_alu instid0(VALU_DEP_1)
	s_and_b32 vcc_lo, exec_lo, s2
	s_cbranch_vccnz .LBB0_8
; %bb.1:
	s_load_b64 s[2:3], s[0:1], 0x10
	v_mov_b32_e32 v1, 0
	v_mov_b32_e32 v2, 0
	s_add_nc_u64 s[12:13], s[10:11], 8
	s_mov_b64 s[14:15], 1
	s_wait_kmcnt 0x0
	s_add_nc_u64 s[16:17], s[2:3], 8
	s_mov_b32 s3, 0
.LBB0_2:                                ; =>This Inner Loop Header: Depth=1
	s_load_b64 s[18:19], s[16:17], 0x0
                                        ; implicit-def: $vgpr7_vgpr8
	s_mov_b32 s2, exec_lo
	s_wait_kmcnt 0x0
	v_or_b32_e32 v4, s19, v6
	s_delay_alu instid0(VALU_DEP_1)
	v_cmpx_ne_u64_e32 0, v[3:4]
	s_wait_alu 0xfffe
	s_xor_b32 s20, exec_lo, s2
	s_cbranch_execz .LBB0_4
; %bb.3:                                ;   in Loop: Header=BB0_2 Depth=1
	s_cvt_f32_u32 s2, s18
	s_cvt_f32_u32 s21, s19
	s_sub_nc_u64 s[24:25], 0, s[18:19]
	s_wait_alu 0xfffe
	s_delay_alu instid0(SALU_CYCLE_1) | instskip(SKIP_1) | instid1(SALU_CYCLE_2)
	s_fmamk_f32 s2, s21, 0x4f800000, s2
	s_wait_alu 0xfffe
	v_s_rcp_f32 s2, s2
	s_delay_alu instid0(TRANS32_DEP_1) | instskip(SKIP_1) | instid1(SALU_CYCLE_2)
	s_mul_f32 s2, s2, 0x5f7ffffc
	s_wait_alu 0xfffe
	s_mul_f32 s21, s2, 0x2f800000
	s_wait_alu 0xfffe
	s_delay_alu instid0(SALU_CYCLE_2) | instskip(SKIP_1) | instid1(SALU_CYCLE_2)
	s_trunc_f32 s21, s21
	s_wait_alu 0xfffe
	s_fmamk_f32 s2, s21, 0xcf800000, s2
	s_cvt_u32_f32 s23, s21
	s_wait_alu 0xfffe
	s_delay_alu instid0(SALU_CYCLE_1) | instskip(SKIP_1) | instid1(SALU_CYCLE_2)
	s_cvt_u32_f32 s22, s2
	s_wait_alu 0xfffe
	s_mul_u64 s[26:27], s[24:25], s[22:23]
	s_wait_alu 0xfffe
	s_mul_hi_u32 s29, s22, s27
	s_mul_i32 s28, s22, s27
	s_mul_hi_u32 s2, s22, s26
	s_mul_i32 s30, s23, s26
	s_wait_alu 0xfffe
	s_add_nc_u64 s[28:29], s[2:3], s[28:29]
	s_mul_hi_u32 s21, s23, s26
	s_mul_hi_u32 s31, s23, s27
	s_add_co_u32 s2, s28, s30
	s_wait_alu 0xfffe
	s_add_co_ci_u32 s2, s29, s21
	s_mul_i32 s26, s23, s27
	s_add_co_ci_u32 s27, s31, 0
	s_wait_alu 0xfffe
	s_add_nc_u64 s[26:27], s[2:3], s[26:27]
	s_wait_alu 0xfffe
	v_add_co_u32 v4, s2, s22, s26
	s_delay_alu instid0(VALU_DEP_1) | instskip(SKIP_1) | instid1(VALU_DEP_1)
	s_cmp_lg_u32 s2, 0
	s_add_co_ci_u32 s23, s23, s27
	v_readfirstlane_b32 s22, v4
	s_wait_alu 0xfffe
	s_delay_alu instid0(VALU_DEP_1)
	s_mul_u64 s[24:25], s[24:25], s[22:23]
	s_wait_alu 0xfffe
	s_mul_hi_u32 s27, s22, s25
	s_mul_i32 s26, s22, s25
	s_mul_hi_u32 s2, s22, s24
	s_mul_i32 s28, s23, s24
	s_wait_alu 0xfffe
	s_add_nc_u64 s[26:27], s[2:3], s[26:27]
	s_mul_hi_u32 s21, s23, s24
	s_mul_hi_u32 s22, s23, s25
	s_wait_alu 0xfffe
	s_add_co_u32 s2, s26, s28
	s_add_co_ci_u32 s2, s27, s21
	s_mul_i32 s24, s23, s25
	s_add_co_ci_u32 s25, s22, 0
	s_wait_alu 0xfffe
	s_add_nc_u64 s[24:25], s[2:3], s[24:25]
	s_wait_alu 0xfffe
	v_add_co_u32 v4, s2, v4, s24
	s_delay_alu instid0(VALU_DEP_1) | instskip(SKIP_1) | instid1(VALU_DEP_1)
	s_cmp_lg_u32 s2, 0
	s_add_co_ci_u32 s2, s23, s25
	v_mul_hi_u32 v13, v5, v4
	s_wait_alu 0xfffe
	v_mad_co_u64_u32 v[7:8], null, v5, s2, 0
	v_mad_co_u64_u32 v[9:10], null, v6, v4, 0
	;; [unrolled: 1-line block ×3, first 2 shown]
	s_delay_alu instid0(VALU_DEP_3) | instskip(SKIP_1) | instid1(VALU_DEP_4)
	v_add_co_u32 v4, vcc_lo, v13, v7
	s_wait_alu 0xfffd
	v_add_co_ci_u32_e32 v7, vcc_lo, 0, v8, vcc_lo
	s_delay_alu instid0(VALU_DEP_2) | instskip(SKIP_1) | instid1(VALU_DEP_2)
	v_add_co_u32 v4, vcc_lo, v4, v9
	s_wait_alu 0xfffd
	v_add_co_ci_u32_e32 v4, vcc_lo, v7, v10, vcc_lo
	s_wait_alu 0xfffd
	v_add_co_ci_u32_e32 v7, vcc_lo, 0, v12, vcc_lo
	s_delay_alu instid0(VALU_DEP_2) | instskip(SKIP_1) | instid1(VALU_DEP_2)
	v_add_co_u32 v4, vcc_lo, v4, v11
	s_wait_alu 0xfffd
	v_add_co_ci_u32_e32 v9, vcc_lo, 0, v7, vcc_lo
	s_delay_alu instid0(VALU_DEP_2) | instskip(SKIP_1) | instid1(VALU_DEP_3)
	v_mul_lo_u32 v10, s19, v4
	v_mad_co_u64_u32 v[7:8], null, s18, v4, 0
	v_mul_lo_u32 v11, s18, v9
	s_delay_alu instid0(VALU_DEP_2) | instskip(NEXT) | instid1(VALU_DEP_2)
	v_sub_co_u32 v7, vcc_lo, v5, v7
	v_add3_u32 v8, v8, v11, v10
	s_delay_alu instid0(VALU_DEP_1) | instskip(SKIP_1) | instid1(VALU_DEP_1)
	v_sub_nc_u32_e32 v10, v6, v8
	s_wait_alu 0xfffd
	v_subrev_co_ci_u32_e64 v10, s2, s19, v10, vcc_lo
	v_add_co_u32 v11, s2, v4, 2
	s_wait_alu 0xf1ff
	v_add_co_ci_u32_e64 v12, s2, 0, v9, s2
	v_sub_co_u32 v13, s2, v7, s18
	v_sub_co_ci_u32_e32 v8, vcc_lo, v6, v8, vcc_lo
	s_wait_alu 0xf1ff
	v_subrev_co_ci_u32_e64 v10, s2, 0, v10, s2
	s_delay_alu instid0(VALU_DEP_3) | instskip(NEXT) | instid1(VALU_DEP_3)
	v_cmp_le_u32_e32 vcc_lo, s18, v13
	v_cmp_eq_u32_e64 s2, s19, v8
	s_wait_alu 0xfffd
	v_cndmask_b32_e64 v13, 0, -1, vcc_lo
	v_cmp_le_u32_e32 vcc_lo, s19, v10
	s_wait_alu 0xfffd
	v_cndmask_b32_e64 v14, 0, -1, vcc_lo
	v_cmp_le_u32_e32 vcc_lo, s18, v7
	;; [unrolled: 3-line block ×3, first 2 shown]
	s_wait_alu 0xfffd
	v_cndmask_b32_e64 v15, 0, -1, vcc_lo
	v_cmp_eq_u32_e32 vcc_lo, s19, v10
	s_wait_alu 0xf1ff
	s_delay_alu instid0(VALU_DEP_2)
	v_cndmask_b32_e64 v7, v15, v7, s2
	s_wait_alu 0xfffd
	v_cndmask_b32_e32 v10, v14, v13, vcc_lo
	v_add_co_u32 v13, vcc_lo, v4, 1
	s_wait_alu 0xfffd
	v_add_co_ci_u32_e32 v14, vcc_lo, 0, v9, vcc_lo
	s_delay_alu instid0(VALU_DEP_3) | instskip(SKIP_2) | instid1(VALU_DEP_3)
	v_cmp_ne_u32_e32 vcc_lo, 0, v10
	s_wait_alu 0xfffd
	v_cndmask_b32_e32 v10, v13, v11, vcc_lo
	v_cndmask_b32_e32 v8, v14, v12, vcc_lo
	v_cmp_ne_u32_e32 vcc_lo, 0, v7
	s_wait_alu 0xfffd
	s_delay_alu instid0(VALU_DEP_2)
	v_dual_cndmask_b32 v7, v4, v10 :: v_dual_cndmask_b32 v8, v9, v8
.LBB0_4:                                ;   in Loop: Header=BB0_2 Depth=1
	s_wait_alu 0xfffe
	s_and_not1_saveexec_b32 s2, s20
	s_cbranch_execz .LBB0_6
; %bb.5:                                ;   in Loop: Header=BB0_2 Depth=1
	v_cvt_f32_u32_e32 v4, s18
	s_sub_co_i32 s20, 0, s18
	s_delay_alu instid0(VALU_DEP_1) | instskip(NEXT) | instid1(TRANS32_DEP_1)
	v_rcp_iflag_f32_e32 v4, v4
	v_mul_f32_e32 v4, 0x4f7ffffe, v4
	s_delay_alu instid0(VALU_DEP_1) | instskip(SKIP_1) | instid1(VALU_DEP_1)
	v_cvt_u32_f32_e32 v4, v4
	s_wait_alu 0xfffe
	v_mul_lo_u32 v7, s20, v4
	s_delay_alu instid0(VALU_DEP_1) | instskip(NEXT) | instid1(VALU_DEP_1)
	v_mul_hi_u32 v7, v4, v7
	v_add_nc_u32_e32 v4, v4, v7
	s_delay_alu instid0(VALU_DEP_1) | instskip(NEXT) | instid1(VALU_DEP_1)
	v_mul_hi_u32 v4, v5, v4
	v_mul_lo_u32 v7, v4, s18
	v_add_nc_u32_e32 v8, 1, v4
	s_delay_alu instid0(VALU_DEP_2) | instskip(NEXT) | instid1(VALU_DEP_1)
	v_sub_nc_u32_e32 v7, v5, v7
	v_subrev_nc_u32_e32 v9, s18, v7
	v_cmp_le_u32_e32 vcc_lo, s18, v7
	s_wait_alu 0xfffd
	s_delay_alu instid0(VALU_DEP_2) | instskip(NEXT) | instid1(VALU_DEP_1)
	v_dual_cndmask_b32 v7, v7, v9 :: v_dual_cndmask_b32 v4, v4, v8
	v_cmp_le_u32_e32 vcc_lo, s18, v7
	s_delay_alu instid0(VALU_DEP_2) | instskip(SKIP_1) | instid1(VALU_DEP_1)
	v_add_nc_u32_e32 v8, 1, v4
	s_wait_alu 0xfffd
	v_dual_cndmask_b32 v7, v4, v8 :: v_dual_mov_b32 v8, v3
.LBB0_6:                                ;   in Loop: Header=BB0_2 Depth=1
	s_wait_alu 0xfffe
	s_or_b32 exec_lo, exec_lo, s2
	s_load_b64 s[20:21], s[12:13], 0x0
	s_delay_alu instid0(VALU_DEP_1)
	v_mul_lo_u32 v4, v8, s18
	v_mul_lo_u32 v11, v7, s19
	v_mad_co_u64_u32 v[9:10], null, v7, s18, 0
	s_add_nc_u64 s[14:15], s[14:15], 1
	s_add_nc_u64 s[12:13], s[12:13], 8
	s_wait_alu 0xfffe
	v_cmp_ge_u64_e64 s2, s[14:15], s[6:7]
	s_add_nc_u64 s[16:17], s[16:17], 8
	s_delay_alu instid0(VALU_DEP_2) | instskip(NEXT) | instid1(VALU_DEP_3)
	v_add3_u32 v4, v10, v11, v4
	v_sub_co_u32 v5, vcc_lo, v5, v9
	s_wait_alu 0xfffd
	s_delay_alu instid0(VALU_DEP_2) | instskip(SKIP_3) | instid1(VALU_DEP_2)
	v_sub_co_ci_u32_e32 v4, vcc_lo, v6, v4, vcc_lo
	s_and_b32 vcc_lo, exec_lo, s2
	s_wait_kmcnt 0x0
	v_mul_lo_u32 v6, s21, v5
	v_mul_lo_u32 v4, s20, v4
	v_mad_co_u64_u32 v[1:2], null, s20, v5, v[1:2]
	s_delay_alu instid0(VALU_DEP_1)
	v_add3_u32 v2, v6, v2, v4
	s_wait_alu 0xfffe
	s_cbranch_vccnz .LBB0_9
; %bb.7:                                ;   in Loop: Header=BB0_2 Depth=1
	v_dual_mov_b32 v5, v7 :: v_dual_mov_b32 v6, v8
	s_branch .LBB0_2
.LBB0_8:
	v_dual_mov_b32 v8, v6 :: v_dual_mov_b32 v7, v5
.LBB0_9:
	s_lshl_b64 s[2:3], s[6:7], 3
	v_mul_hi_u32 v5, 0x28f5c29, v0
	s_wait_alu 0xfffe
	s_add_nc_u64 s[2:3], s[10:11], s[2:3]
                                        ; implicit-def: $vgpr10_vgpr11
                                        ; implicit-def: $vgpr18_vgpr19
                                        ; implicit-def: $vgpr30_vgpr31
                                        ; implicit-def: $vgpr34_vgpr35
                                        ; implicit-def: $vgpr42_vgpr43
                                        ; implicit-def: $vgpr22_vgpr23
                                        ; implicit-def: $vgpr38_vgpr39
                                        ; implicit-def: $vgpr26_vgpr27
                                        ; implicit-def: $vgpr14_vgpr15
                                        ; implicit-def: $vgpr46_vgpr47
                                        ; implicit-def: $vgpr66_vgpr67
                                        ; implicit-def: $vgpr54_vgpr55
                                        ; implicit-def: $vgpr98_vgpr99
                                        ; implicit-def: $vgpr82_vgpr83
                                        ; implicit-def: $vgpr90_vgpr91
                                        ; implicit-def: $vgpr110_vgpr111
                                        ; implicit-def: $vgpr94_vgpr95
                                        ; implicit-def: $vgpr78_vgpr79
                                        ; implicit-def: $vgpr62_vgpr63
                                        ; implicit-def: $vgpr50_vgpr51
                                        ; implicit-def: $vgpr70_vgpr71
                                        ; implicit-def: $vgpr58_vgpr59
                                        ; implicit-def: $vgpr106_vgpr107
                                        ; implicit-def: $vgpr86_vgpr87
                                        ; implicit-def: $vgpr118_vgpr119
                                        ; implicit-def: $vgpr114_vgpr115
                                        ; implicit-def: $vgpr102_vgpr103
                                        ; implicit-def: $vgpr74_vgpr75
	s_load_b64 s[2:3], s[2:3], 0x0
	s_load_b64 s[0:1], s[0:1], 0x20
	s_wait_kmcnt 0x0
	v_mul_lo_u32 v3, s2, v8
	v_mul_lo_u32 v4, s3, v7
	v_mad_co_u64_u32 v[1:2], null, s2, v7, v[1:2]
	v_cmp_gt_u64_e32 vcc_lo, s[0:1], v[7:8]
                                        ; implicit-def: $vgpr6_vgpr7
	s_delay_alu instid0(VALU_DEP_2) | instskip(SKIP_1) | instid1(VALU_DEP_2)
	v_add3_u32 v2, v4, v2, v3
	v_mul_u32_u24_e32 v3, 0x64, v5
	v_lshlrev_b64_e32 v[166:167], 4, v[1:2]
	s_delay_alu instid0(VALU_DEP_2)
	v_sub_nc_u32_e32 v164, v0, v3
                                        ; implicit-def: $vgpr2_vgpr3
	s_and_saveexec_b32 s1, vcc_lo
; %bb.10:
	v_mov_b32_e32 v165, 0
	s_delay_alu instid0(VALU_DEP_3) | instskip(SKIP_2) | instid1(VALU_DEP_3)
	v_add_co_u32 v2, s0, s8, v166
	s_wait_alu 0xf1ff
	v_add_co_ci_u32_e64 v3, s0, s9, v167, s0
	v_lshlrev_b64_e32 v[0:1], 4, v[164:165]
	s_delay_alu instid0(VALU_DEP_1) | instskip(SKIP_1) | instid1(VALU_DEP_2)
	v_add_co_u32 v0, s0, v2, v0
	s_wait_alu 0xf1ff
	v_add_co_ci_u32_e64 v1, s0, v3, v1, s0
	s_clause 0x1d
	global_load_b128 v[72:75], v[0:1], off
	global_load_b128 v[76:79], v[0:1], off offset:1600
	global_load_b128 v[112:115], v[0:1], off offset:9600
	;; [unrolled: 1-line block ×29, first 2 shown]
; %bb.11:
	s_wait_alu 0xfffe
	s_or_b32 exec_lo, exec_lo, s1
	s_wait_loadcnt 0x7
	v_add_f64_e32 v[124:125], v[68:69], v[104:105]
	s_wait_loadcnt 0x3
	v_add_f64_e32 v[126:127], v[60:61], v[116:117]
	v_add_f64_e32 v[132:133], v[116:117], v[100:101]
	;; [unrolled: 1-line block ×9, first 2 shown]
	v_add_f64_e64 v[182:183], v[118:119], -v[62:63]
	v_add_f64_e64 v[192:193], v[106:107], -v[70:71]
	s_mov_b32 s0, 0x134454ff
	s_mov_b32 s1, 0x3fee6f0e
	;; [unrolled: 1-line block ×3, first 2 shown]
	s_wait_alu 0xfffe
	s_mov_b32 s2, s0
	v_add_f64_e32 v[128:129], v[112:113], v[72:73]
	v_add_f64_e32 v[130:131], v[114:115], v[74:75]
	;; [unrolled: 1-line block ×3, first 2 shown]
	v_add_f64_e64 v[150:151], v[112:113], -v[84:85]
	v_add_f64_e64 v[152:153], v[84:85], -v[112:113]
	v_add_f64_e32 v[170:171], v[46:47], v[110:111]
	v_add_f64_e64 v[174:175], v[48:49], -v[56:57]
	v_add_f64_e64 v[176:177], v[56:57], -v[48:49]
	v_add_f64_e64 v[184:185], v[116:117], -v[104:105]
	v_add_f64_e64 v[186:187], v[104:105], -v[116:117]
	v_add_f64_e64 v[116:117], v[116:117], -v[60:61]
	v_add_f64_e64 v[188:189], v[118:119], -v[106:107]
	v_add_f64_e64 v[196:197], v[106:107], -v[118:119]
	v_add_f64_e64 v[118:119], v[104:105], -v[68:69]
	v_add_f64_e64 v[198:199], v[60:61], -v[68:69]
	v_add_f64_e64 v[200:201], v[68:69], -v[60:61]
	v_add_f64_e64 v[202:203], v[62:63], -v[70:71]
	v_add_f64_e64 v[204:205], v[70:71], -v[62:63]
	v_add_f64_e32 v[210:211], v[64:65], v[96:97]
	s_wait_loadcnt 0x1
	v_add_f64_e32 v[212:213], v[12:13], v[88:89]
	v_add_f64_e32 v[136:137], v[108:109], v[76:77]
	v_add_f64_e64 v[158:159], v[114:115], -v[86:87]
	v_fma_f64 v[190:191], v[124:125], -0.5, v[100:101]
	v_fma_f64 v[194:195], v[126:127], -0.5, v[100:101]
	v_add_f64_e32 v[104:105], v[104:105], v[132:133]
	v_add_f64_e32 v[106:107], v[106:107], v[134:135]
	v_fma_f64 v[222:223], v[140:141], -0.5, v[72:73]
	v_fma_f64 v[224:225], v[142:143], -0.5, v[72:73]
	;; [unrolled: 1-line block ×6, first 2 shown]
	v_add_f64_e32 v[160:161], v[52:53], v[80:81]
	v_add_f64_e32 v[162:163], v[44:45], v[108:109]
	;; [unrolled: 1-line block ×3, first 2 shown]
	v_add_f64_e64 v[178:179], v[50:51], -v[58:59]
	v_add_f64_e32 v[218:219], v[88:89], v[92:93]
	v_add_f64_e32 v[220:221], v[90:91], v[94:95]
	s_mov_b32 s6, 0x4755a5e
	s_mov_b32 s7, 0x3fe2cf23
	;; [unrolled: 1-line block ×3, first 2 shown]
	s_wait_alu 0xfffe
	s_mov_b32 s10, s6
	v_add_f64_e64 v[120:121], v[114:115], -v[50:51]
	v_add_f64_e64 v[172:173], v[86:87], -v[114:115]
	v_add_f64_e64 v[122:123], v[86:87], -v[58:59]
	v_add_f64_e64 v[180:181], v[58:59], -v[50:51]
	v_add_f64_e64 v[100:101], v[110:111], -v[46:47]
	v_add_f64_e64 v[206:207], v[108:109], -v[80:81]
	v_add_f64_e64 v[208:209], v[80:81], -v[108:109]
	v_add_f64_e64 v[148:149], v[110:111], -v[82:83]
	v_add_f64_e64 v[110:111], v[82:83], -v[110:111]
	v_add_f64_e32 v[126:127], v[86:87], v[130:131]
	v_add_f64_e64 v[86:87], v[82:83], -v[54:55]
	v_add_f64_e32 v[130:131], v[82:83], v[138:139]
	v_add_f64_e64 v[226:227], v[44:45], -v[52:53]
	v_add_f64_e64 v[228:229], v[52:53], -v[44:45]
	v_fma_f64 v[102:103], v[170:171], -0.5, v[78:79]
	v_fma_f64 v[146:147], v[210:211], -0.5, v[92:93]
	;; [unrolled: 1-line block ×3, first 2 shown]
	v_add_f64_e32 v[92:93], v[174:175], v[150:151]
	v_fma_f64 v[74:75], v[182:183], s[0:1], v[190:191]
	v_fma_f64 v[154:155], v[182:183], s[2:3], v[190:191]
	;; [unrolled: 1-line block ×4, first 2 shown]
	v_add_f64_e32 v[82:83], v[176:177], v[152:153]
	v_add_f64_e64 v[170:171], v[90:91], -v[98:99]
	v_add_f64_e32 v[174:175], v[198:199], v[184:185]
	v_add_f64_e32 v[184:185], v[200:201], v[186:187]
	;; [unrolled: 1-line block ×3, first 2 shown]
	v_add_f64_e64 v[188:189], v[14:15], -v[66:67]
	v_add_f64_e32 v[152:153], v[204:205], v[196:197]
	v_fma_f64 v[196:197], v[116:117], s[2:3], v[72:73]
	v_add_f64_e32 v[214:215], v[66:67], v[98:99]
	v_add_f64_e64 v[114:115], v[84:85], -v[56:57]
	v_add_f64_e32 v[124:125], v[84:85], v[128:129]
	v_add_f64_e32 v[216:217], v[14:15], v[90:91]
	v_add_f64_e64 v[84:85], v[80:81], -v[52:53]
	v_add_f64_e32 v[128:129], v[80:81], v[136:137]
	v_fma_f64 v[144:145], v[160:161], -0.5, v[76:77]
	v_fma_f64 v[140:141], v[162:163], -0.5, v[76:77]
	;; [unrolled: 1-line block ×3, first 2 shown]
	v_add_f64_e64 v[160:161], v[54:55], -v[46:47]
	v_add_f64_e64 v[78:79], v[98:99], -v[66:67]
	;; [unrolled: 1-line block ×5, first 2 shown]
	v_add_f64_e32 v[198:199], v[96:97], v[218:219]
	v_add_f64_e32 v[200:201], v[98:99], v[220:221]
	v_add_f64_e64 v[98:99], v[98:99], -v[90:91]
	v_add_f64_e64 v[96:97], v[90:91], -v[14:15]
	;; [unrolled: 1-line block ×3, first 2 shown]
	v_add_f64_e32 v[88:89], v[178:179], v[158:159]
	s_wait_loadcnt 0x0
	v_add_f64_e32 v[158:159], v[0:1], v[40:41]
	s_mov_b32 s12, 0x372fe950
	s_mov_b32 s13, 0x3fd3c6ef
	v_add_f64_e64 v[112:113], v[112:113], -v[48:49]
	v_add_f64_e64 v[108:109], v[108:109], -v[44:45]
	;; [unrolled: 1-line block ×3, first 2 shown]
	v_fma_f64 v[202:203], v[192:193], s[6:7], v[74:75]
	v_fma_f64 v[154:155], v[192:193], s[10:11], v[154:155]
	v_fma_f64 v[190:191], v[182:183], s[6:7], v[190:191]
	v_fma_f64 v[182:183], v[182:183], s[10:11], v[194:195]
	v_fma_f64 v[192:193], v[116:117], s[0:1], v[72:73]
	v_fma_f64 v[194:195], v[118:119], s[0:1], v[156:157]
	v_fma_f64 v[156:157], v[118:119], s[2:3], v[156:157]
	v_add_f64_e64 v[204:205], v[66:67], -v[14:15]
	v_add_f64_e32 v[76:77], v[180:181], v[172:173]
	v_add_f64_e32 v[74:75], v[226:227], v[206:207]
	;; [unrolled: 1-line block ×4, first 2 shown]
	v_add_f64_e64 v[178:179], v[28:29], -v[40:41]
	v_add_f64_e64 v[180:181], v[8:9], -v[0:1]
	v_add_f64_e32 v[206:207], v[10:11], v[30:31]
	v_add_f64_e32 v[208:209], v[2:3], v[42:43]
	;; [unrolled: 1-line block ×3, first 2 shown]
	v_fma_f64 v[188:189], v[120:121], s[0:1], v[222:223]
	v_fma_f64 v[210:211], v[120:121], s[2:3], v[222:223]
	;; [unrolled: 1-line block ×4, first 2 shown]
	v_fma_f64 v[138:139], v[214:215], -0.5, v[94:95]
	v_fma_f64 v[94:95], v[216:217], -0.5, v[94:95]
	v_add_f64_e64 v[186:187], v[64:65], -v[12:13]
	v_add_f64_e32 v[110:111], v[160:161], v[110:111]
	v_add_f64_e64 v[160:161], v[30:31], -v[10:11]
	v_add_f64_e32 v[56:57], v[56:57], v[124:125]
	v_add_f64_e32 v[58:59], v[58:59], v[126:127]
	s_mov_b32 s14, 0x9b97f4a8
	s_mov_b32 s15, 0x3fe9e377
	v_add_f64_e64 v[230:231], v[46:47], -v[54:55]
	v_add_f64_e32 v[68:69], v[68:69], v[104:105]
	v_fma_f64 v[158:159], v[158:159], -0.5, v[36:37]
	v_add_f64_e32 v[70:71], v[70:71], v[106:107]
	v_add_f64_e32 v[52:53], v[52:53], v[128:129]
	;; [unrolled: 1-line block ×3, first 2 shown]
	v_fma_f64 v[104:105], v[112:113], s[2:3], v[134:135]
	v_add_f64_e32 v[162:163], v[176:177], v[162:163]
	v_fma_f64 v[202:203], v[174:175], s[12:13], v[202:203]
	v_add_f64_e64 v[176:177], v[42:43], -v[2:3]
	v_fma_f64 v[190:191], v[184:185], s[12:13], v[190:191]
	v_fma_f64 v[182:183], v[184:185], s[12:13], v[182:183]
	;; [unrolled: 1-line block ×6, first 2 shown]
	v_add_f64_e64 v[184:185], v[40:41], -v[0:1]
	v_fma_f64 v[154:155], v[174:175], s[12:13], v[154:155]
	v_add_f64_e32 v[98:99], v[204:205], v[98:99]
	v_fma_f64 v[172:173], v[172:173], -0.5, v[36:37]
	v_fma_f64 v[106:107], v[112:113], s[0:1], v[134:135]
	v_add_f64_e32 v[178:179], v[180:181], v[178:179]
	v_fma_f64 v[180:181], v[206:207], -0.5, v[38:39]
	v_fma_f64 v[204:205], v[208:209], -0.5, v[38:39]
	v_fma_f64 v[124:125], v[114:115], s[0:1], v[132:133]
	v_fma_f64 v[126:127], v[114:115], s[2:3], v[132:133]
	;; [unrolled: 1-line block ×15, first 2 shown]
	v_add_f64_e32 v[64:65], v[64:65], v[198:199]
	v_add_f64_e32 v[66:67], v[66:67], v[200:201]
	v_fma_f64 v[210:211], v[90:91], s[2:3], v[138:139]
	v_fma_f64 v[138:139], v[90:91], s[0:1], v[138:139]
	v_add_f64_e64 v[174:175], v[28:29], -v[8:9]
	v_add_f64_e32 v[168:169], v[186:187], v[168:169]
	v_add_f64_e32 v[186:187], v[16:17], v[32:33]
	s_wait_alu 0xfffe
	v_mul_f64_e32 v[198:199], s[14:15], v[202:203]
	v_fma_f64 v[142:143], v[78:79], s[0:1], v[142:143]
	v_mul_f64_e32 v[200:201], s[12:13], v[190:191]
	v_add_f64_e32 v[48:49], v[48:49], v[56:57]
	v_fma_f64 v[118:119], v[150:151], s[12:13], v[118:119]
	v_fma_f64 v[192:193], v[120:121], s[6:7], v[192:193]
	;; [unrolled: 1-line block ×4, first 2 shown]
	v_mul_f64_e32 v[150:151], s[12:13], v[182:183]
	v_fma_f64 v[194:195], v[152:153], s[12:13], v[194:195]
	v_fma_f64 v[212:213], v[80:81], s[0:1], v[94:95]
	;; [unrolled: 1-line block ×3, first 2 shown]
	v_add_f64_e32 v[214:215], v[50:51], v[58:59]
	v_fma_f64 v[50:51], v[160:161], s[2:3], v[158:159]
	v_fma_f64 v[56:57], v[160:161], s[0:1], v[158:159]
	;; [unrolled: 1-line block ×3, first 2 shown]
	v_add_f64_e32 v[148:149], v[230:231], v[148:149]
	v_add_f64_e32 v[156:157], v[4:5], v[20:21]
	v_mul_f64_e32 v[152:153], s[14:15], v[154:155]
	v_add_f64_e32 v[58:59], v[60:61], v[68:69]
	v_add_f64_e32 v[158:159], v[62:63], v[70:71]
	;; [unrolled: 1-line block ×3, first 2 shown]
	v_fma_f64 v[44:45], v[114:115], s[10:11], v[104:105]
	v_fma_f64 v[52:53], v[114:115], s[6:7], v[106:107]
	v_add_f64_e32 v[104:105], v[46:47], v[54:55]
	v_fma_f64 v[46:47], v[112:113], s[10:11], v[124:125]
	v_fma_f64 v[60:61], v[86:87], s[6:7], v[128:129]
	;; [unrolled: 1-line block ×11, first 2 shown]
	v_add_f64_e64 v[122:123], v[0:1], -v[8:9]
	v_fma_f64 v[128:129], v[78:79], s[6:7], v[206:207]
	v_fma_f64 v[130:131], v[176:177], s[0:1], v[172:173]
	;; [unrolled: 1-line block ×4, first 2 shown]
	v_add_f64_e32 v[136:137], v[18:19], v[34:35]
	v_add_f64_e64 v[188:189], v[42:43], -v[30:31]
	v_fma_f64 v[108:109], v[82:83], s[12:13], v[192:193]
	v_fma_f64 v[82:83], v[82:83], s[12:13], v[120:121]
	v_add_f64_e64 v[120:121], v[40:41], -v[28:29]
	v_fma_f64 v[124:125], v[116:117], s[0:1], -v[150:151]
	v_add_f64_e64 v[192:193], v[2:3], -v[10:11]
	v_fma_f64 v[208:209], v[184:185], s[0:1], v[180:181]
	v_fma_f64 v[54:55], v[112:113], s[6:7], v[126:127]
	;; [unrolled: 1-line block ×6, first 2 shown]
	v_add_f64_e32 v[138:139], v[6:7], v[22:23]
	v_add_f64_e64 v[198:199], v[30:31], -v[42:43]
	v_add_f64_e64 v[200:201], v[10:11], -v[2:3]
	v_fma_f64 v[206:207], v[174:175], s[2:3], v[204:205]
	v_fma_f64 v[96:97], v[96:97], s[10:11], v[142:143]
	;; [unrolled: 1-line block ×6, first 2 shown]
	v_add_f64_e64 v[176:177], v[22:23], -v[6:7]
	v_fma_f64 v[186:187], v[186:187], -0.5, v[24:25]
	v_fma_f64 v[78:79], v[78:79], s[10:11], v[146:147]
	v_fma_f64 v[126:127], v[118:119], s[6:7], -v[152:153]
	v_add_f64_e32 v[146:147], v[20:21], v[24:25]
	v_fma_f64 v[150:151], v[88:89], s[12:13], v[44:45]
	v_add_f64_e32 v[152:153], v[22:23], v[26:27]
	v_fma_f64 v[210:211], v[74:75], s[12:13], v[60:61]
	v_fma_f64 v[212:213], v[74:75], s[12:13], v[62:63]
	;; [unrolled: 1-line block ×5, first 2 shown]
	v_fma_f64 v[60:61], v[156:157], -0.5, v[24:25]
	v_add_f64_e64 v[62:63], v[34:35], -v[18:19]
	v_add_f64_e32 v[36:37], v[40:41], v[36:37]
	v_fma_f64 v[40:41], v[184:185], s[2:3], v[180:181]
	v_fma_f64 v[70:71], v[174:175], s[0:1], v[204:205]
	;; [unrolled: 1-line block ×3, first 2 shown]
	v_add_f64_e32 v[44:45], v[58:59], v[48:49]
	v_fma_f64 v[74:75], v[160:161], s[10:11], v[134:135]
	v_add_f64_e32 v[68:69], v[122:123], v[120:121]
	v_fma_f64 v[120:121], v[148:149], s[12:13], v[84:85]
	v_add_f64_e64 v[50:51], v[48:49], -v[58:59]
	v_fma_f64 v[84:85], v[136:137], -0.5, v[26:27]
	v_add_f64_e64 v[86:87], v[20:21], -v[4:5]
	v_add_f64_e32 v[58:59], v[82:83], v[124:125]
	v_add_f64_e64 v[24:25], v[82:83], -v[124:125]
	v_fma_f64 v[82:83], v[162:163], s[12:13], v[128:129]
	v_add_f64_e32 v[38:39], v[42:43], v[38:39]
	v_add_f64_e32 v[42:43], v[192:193], v[188:189]
	v_fma_f64 v[128:129], v[174:175], s[6:7], v[208:209]
	v_fma_f64 v[88:89], v[88:89], s[12:13], v[52:53]
	;; [unrolled: 1-line block ×4, first 2 shown]
	v_add_f64_e32 v[46:47], v[106:107], v[112:113]
	v_add_f64_e64 v[52:53], v[106:107], -v[112:113]
	v_add_f64_e64 v[54:55], v[108:109], -v[114:115]
	v_add_f64_e32 v[56:57], v[108:109], v[114:115]
	v_add_f64_e64 v[106:107], v[20:21], -v[32:33]
	v_add_f64_e64 v[108:109], v[4:5], -v[16:17]
	v_fma_f64 v[26:27], v[138:139], -0.5, v[26:27]
	v_add_f64_e64 v[112:113], v[32:33], -v[16:17]
	v_add_f64_e32 v[114:115], v[200:201], v[198:199]
	v_fma_f64 v[124:125], v[184:185], s[6:7], v[206:207]
	v_fma_f64 v[122:123], v[176:177], s[0:1], v[186:187]
	;; [unrolled: 1-line block ×4, first 2 shown]
	v_add_f64_e64 v[20:21], v[32:33], -v[20:21]
	v_add_f64_e64 v[134:135], v[16:17], -v[4:5]
	v_fma_f64 v[96:97], v[168:169], s[12:13], v[96:97]
	v_fma_f64 v[78:79], v[162:163], s[12:13], v[78:79]
	;; [unrolled: 1-line block ×3, first 2 shown]
	v_add_f64_e32 v[32:33], v[32:33], v[146:147]
	v_fma_f64 v[138:139], v[62:63], s[2:3], v[60:61]
	v_add_f64_e32 v[28:29], v[28:29], v[36:37]
	v_fma_f64 v[36:37], v[174:175], s[10:11], v[40:41]
	v_fma_f64 v[40:41], v[184:185], s[10:11], v[70:71]
	;; [unrolled: 1-line block ×7, first 2 shown]
	v_add_f64_e64 v[68:69], v[22:23], -v[34:35]
	v_add_f64_e32 v[74:75], v[34:35], v[152:153]
	v_add_f64_e64 v[144:145], v[6:7], -v[18:19]
	v_fma_f64 v[146:147], v[86:87], s[2:3], v[84:85]
	v_fma_f64 v[84:85], v[86:87], s[0:1], v[84:85]
	v_add_f64_e64 v[22:23], v[34:35], -v[22:23]
	v_mul_f64_e32 v[34:35], s[10:11], v[202:203]
	v_add_f64_e32 v[30:31], v[30:31], v[38:39]
	v_fma_f64 v[128:129], v[42:43], s[12:13], v[128:129]
	v_fma_f64 v[60:61], v[62:63], s[0:1], v[60:61]
	;; [unrolled: 1-line block ×3, first 2 shown]
	v_mul_f64_e32 v[116:117], s[12:13], v[116:117]
	v_mul_f64_e32 v[118:119], s[14:15], v[118:119]
	v_fma_f64 v[98:99], v[98:99], s[12:13], v[142:143]
	v_mul_f64_e32 v[142:143], s[2:3], v[190:191]
	v_add_f64_e32 v[106:107], v[108:109], v[106:107]
	v_add_f64_e64 v[108:109], v[18:19], -v[6:7]
	v_fma_f64 v[148:149], v[112:113], s[0:1], v[26:27]
	v_fma_f64 v[152:153], v[112:113], s[2:3], v[26:27]
	v_fma_f64 v[124:125], v[114:115], s[12:13], v[124:125]
	v_mul_f64_e32 v[38:39], s[14:15], v[82:83]
	v_fma_f64 v[122:123], v[62:63], s[6:7], v[122:123]
	v_fma_f64 v[62:63], v[62:63], s[10:11], v[130:131]
	v_mul_f64_e32 v[130:131], s[12:13], v[132:133]
	v_add_f64_e32 v[20:21], v[134:135], v[20:21]
	v_mul_f64_e32 v[134:135], s[12:13], v[96:97]
	v_mul_f64_e32 v[156:157], s[14:15], v[78:79]
	v_add_f64_e32 v[48:49], v[92:93], v[126:127]
	v_mul_f64_e32 v[82:83], s[10:11], v[82:83]
	v_add_f64_e32 v[16:17], v[16:17], v[32:33]
	v_fma_f64 v[32:33], v[176:177], s[6:7], v[138:139]
	v_add_f64_e32 v[8:9], v[8:9], v[28:29]
	v_fma_f64 v[28:29], v[42:43], s[12:13], v[36:37]
	v_fma_f64 v[36:37], v[114:115], s[12:13], v[40:41]
	v_mul_f64_e32 v[40:41], s[14:15], v[70:71]
	v_mul_f64_e32 v[132:133], s[2:3], v[132:133]
	;; [unrolled: 1-line block ×4, first 2 shown]
	v_add_f64_e64 v[26:27], v[92:93], -v[126:127]
	v_add_f64_e32 v[18:19], v[18:19], v[74:75]
	v_add_f64_e32 v[68:69], v[144:145], v[68:69]
	v_mul_f64_e32 v[144:145], s[14:15], v[80:81]
	v_fma_f64 v[84:85], v[112:113], s[6:7], v[84:85]
	v_mul_f64_e32 v[42:43], s[12:13], v[72:73]
	v_fma_f64 v[34:35], v[196:197], s[14:15], v[34:35]
	v_add_f64_e32 v[10:11], v[10:11], v[30:31]
	v_mul_f64_e32 v[126:127], s[14:15], v[128:129]
	v_fma_f64 v[60:61], v[176:177], s[10:11], v[60:61]
	v_mul_f64_e32 v[74:75], s[12:13], v[90:91]
	v_fma_f64 v[146:147], v[112:113], s[10:11], v[146:147]
	v_fma_f64 v[100:101], v[110:111], s[12:13], v[100:101]
	;; [unrolled: 1-line block ×3, first 2 shown]
	v_fma_f64 v[110:111], v[182:183], s[2:3], -v[116:117]
	v_mul_f64_e32 v[30:31], s[10:11], v[70:71]
	v_add_f64_e32 v[22:23], v[108:109], v[22:23]
	v_fma_f64 v[108:109], v[86:87], s[10:11], v[148:149]
	v_mul_f64_e32 v[116:117], s[2:3], v[72:73]
	v_fma_f64 v[112:113], v[154:155], s[10:11], -v[118:119]
	v_fma_f64 v[86:87], v[86:87], s[6:7], v[152:153]
	v_mul_f64_e32 v[118:119], s[12:13], v[124:125]
	v_fma_f64 v[92:93], v[194:195], s[12:13], v[142:143]
	v_add_f64_e32 v[12:13], v[12:13], v[64:65]
	v_add_f64_e32 v[142:143], v[14:15], v[66:67]
	v_fma_f64 v[14:15], v[136:137], s[6:7], v[38:39]
	v_fma_f64 v[38:39], v[98:99], s[0:1], v[130:131]
	v_fma_f64 v[90:91], v[90:91], s[0:1], -v[134:135]
	v_fma_f64 v[80:81], v[80:81], s[6:7], -v[156:157]
	v_add_f64_e32 v[130:131], v[4:5], v[16:17]
	v_fma_f64 v[122:123], v[106:107], s[12:13], v[122:123]
	v_fma_f64 v[106:107], v[106:107], s[12:13], v[62:63]
	v_add_f64_e32 v[152:153], v[0:1], v[8:9]
	v_fma_f64 v[134:135], v[20:21], s[12:13], v[32:33]
	v_fma_f64 v[40:41], v[28:29], s[6:7], v[40:41]
	;; [unrolled: 1-line block ×3, first 2 shown]
	v_fma_f64 v[114:115], v[124:125], s[0:1], -v[114:115]
	v_fma_f64 v[124:125], v[128:129], s[6:7], -v[138:139]
	v_fma_f64 v[128:129], v[136:137], s[14:15], v[82:83]
	v_add_f64_e32 v[132:133], v[6:7], v[18:19]
	v_add_nc_u32_e32 v180, 0xc8, v164
	v_fma_f64 v[136:137], v[78:79], s[10:11], -v[144:145]
	v_fma_f64 v[144:145], v[68:69], s[12:13], v[84:85]
	v_fma_f64 v[42:43], v[36:37], s[0:1], v[42:43]
	v_add_f64_e32 v[62:63], v[150:151], v[34:35]
	v_add_f64_e64 v[64:65], v[150:151], -v[34:35]
	v_add_f64_e32 v[150:151], v[2:3], v[10:11]
	v_fma_f64 v[126:127], v[140:141], s[10:11], -v[126:127]
	v_fma_f64 v[148:149], v[20:21], s[12:13], v[60:61]
	v_fma_f64 v[96:97], v[96:97], s[2:3], -v[74:75]
	v_fma_f64 v[138:139], v[68:69], s[12:13], v[146:147]
	v_add_f64_e32 v[60:61], v[158:159], v[214:215]
	v_add_f64_e32 v[70:71], v[76:77], v[110:111]
	v_fma_f64 v[154:155], v[28:29], s[14:15], v[30:31]
	v_add_f64_e64 v[74:75], v[214:215], -v[158:159]
	v_fma_f64 v[146:147], v[22:23], s[12:13], v[108:109]
	v_fma_f64 v[116:117], v[36:37], s[12:13], v[116:117]
	v_add_f64_e32 v[72:73], v[88:89], v[112:113]
	v_fma_f64 v[156:157], v[22:23], s[12:13], v[86:87]
	v_fma_f64 v[118:119], v[94:95], s[2:3], -v[118:119]
	v_add_f64_e32 v[68:69], v[172:173], v[92:93]
	v_add_f64_e64 v[66:67], v[172:173], -v[92:93]
	v_add_f64_e32 v[0:1], v[12:13], v[216:217]
	v_add_f64_e32 v[2:3], v[210:211], v[14:15]
	;; [unrolled: 1-line block ×4, first 2 shown]
	v_add_f64_e64 v[78:79], v[88:89], -v[112:113]
	v_mul_u32_u24_e32 v112, 10, v164
	v_add_f64_e32 v[8:9], v[212:213], v[80:81]
	v_add_f64_e64 v[10:11], v[216:217], -v[12:13]
	v_add_f64_e64 v[12:13], v[210:211], -v[14:15]
	;; [unrolled: 1-line block ×6, first 2 shown]
	v_add_f64_e32 v[20:21], v[152:153], v[130:131]
	v_add_f64_e32 v[22:23], v[122:123], v[40:41]
	v_add_f64_e64 v[92:93], v[222:223], -v[128:129]
	v_add_f64_e64 v[94:95], v[100:101], -v[98:99]
	;; [unrolled: 1-line block ×3, first 2 shown]
	v_add_f64_e32 v[80:81], v[142:143], v[104:105]
	v_add_f64_e32 v[28:29], v[134:135], v[42:43]
	;; [unrolled: 1-line block ×4, first 2 shown]
	v_add_f64_e64 v[110:111], v[132:133], -v[150:151]
	v_add_f64_e32 v[108:109], v[144:145], v[126:127]
	v_add_f64_e32 v[30:31], v[148:149], v[114:115]
	v_add_f64_e64 v[40:41], v[148:149], -v[114:115]
	v_add_f64_e32 v[86:87], v[102:103], v[96:97]
	v_add_f64_e64 v[96:97], v[102:103], -v[96:97]
	v_add_f64_e64 v[98:99], v[120:121], -v[136:137]
	v_lshl_add_u32 v122, v112, 3, 0
	v_add_f64_e64 v[112:113], v[138:139], -v[154:155]
	v_add_f64_e32 v[32:33], v[106:107], v[124:125]
	v_add_f64_e64 v[114:115], v[146:147], -v[116:117]
	v_add_f64_e64 v[34:35], v[130:131], -v[152:153]
	;; [unrolled: 1-line block ×4, first 2 shown]
	v_add_f64_e32 v[100:101], v[150:151], v[132:133]
	v_add_f64_e32 v[102:103], v[138:139], v[154:155]
	v_add_f64_e64 v[124:125], v[156:157], -v[118:119]
	v_add_f64_e64 v[126:127], v[144:145], -v[126:127]
	v_add_f64_e32 v[88:89], v[120:121], v[136:137]
	v_add_f64_e64 v[90:91], v[104:105], -v[142:143]
	v_add_f64_e32 v[104:105], v[146:147], v[116:117]
	v_add_f64_e32 v[106:107], v[156:157], v[118:119]
	v_and_b32_e32 v121, 0xff, v164
	v_add_nc_u16 v119, v164, 0x64
	v_mad_i32_i24 v165, 0xffffffb8, v164, v122
	ds_store_b128 v122, v[44:47]
	ds_store_b128 v122, v[56:59] offset:16
	ds_store_b128 v122, v[48:51] offset:32
	;; [unrolled: 1-line block ×14, first 2 shown]
	v_mul_lo_u16 v116, 0xcd, v121
	v_and_b32_e32 v120, 0xff, v119
	v_add_nc_u32_e32 v175, 0x4000, v165
	v_add_nc_u32_e32 v178, 0x3000, v165
	;; [unrolled: 1-line block ×3, first 2 shown]
	v_lshrrev_b16 v132, 11, v116
	v_mul_lo_u16 v116, 0xcd, v120
	v_add_nc_u32_e32 v177, 0x1c00, v165
	v_add_nc_u32_e32 v176, 0x800, v165
	;; [unrolled: 1-line block ×4, first 2 shown]
	v_lshrrev_b16 v131, 11, v116
	v_add_nc_u32_e32 v181, 0x3c00, v165
	v_add_nc_u32_e32 v182, 0x2800, v165
	;; [unrolled: 1-line block ×7, first 2 shown]
	global_wb scope:SCOPE_SE
	s_wait_dscnt 0x0
	s_barrier_signal -1
	s_barrier_wait -1
	global_inv scope:SCOPE_SE
	ds_load_2addr_b64 v[16:19], v165 offset1:100
	ds_load_2addr_b64 v[56:59], v177 offset0:104 offset1:204
	ds_load_2addr_b64 v[52:55], v181 offset0:80 offset1:180
	;; [unrolled: 1-line block ×14, first 2 shown]
	global_wb scope:SCOPE_SE
	s_wait_dscnt 0x0
	s_barrier_signal -1
	s_barrier_wait -1
	global_inv scope:SCOPE_SE
	ds_store_b128 v122, v[60:63]
	ds_store_b128 v122, v[68:71] offset:16
	ds_store_b128 v122, v[72:75] offset:32
	;; [unrolled: 1-line block ×3, first 2 shown]
	v_mul_lo_u16 v60, v132, 10
	v_mul_lo_u16 v61, v131, 10
	ds_store_b128 v122, v[76:79] offset:64
	ds_store_b128 v122, v[80:83] offset:8000
	;; [unrolled: 1-line block ×11, first 2 shown]
	v_sub_nc_u16 v60, v164, v60
	v_sub_nc_u16 v61, v119, v61
	v_add_nc_u32_e32 v62, 0x12c, v164
	global_wb scope:SCOPE_SE
	s_wait_dscnt 0x0
	s_barrier_signal -1
	v_and_b32_e32 v123, 0xff, v60
	v_and_b32_e32 v124, 0xff, v61
	s_barrier_wait -1
	global_inv scope:SCOPE_SE
	v_and_b32_e32 v118, 0xffff, v180
	v_lshlrev_b32_e32 v60, 5, v123
	v_lshlrev_b32_e32 v61, 5, v124
	v_and_b32_e32 v63, 0xffff, v62
	v_add_nc_u32_e32 v66, 0x2bc, v164
	v_mul_u32_u24_e32 v64, 0xcccd, v118
	s_clause 0x3
	global_load_b128 v[106:109], v60, s[4:5]
	global_load_b128 v[142:145], v60, s[4:5] offset:16
	global_load_b128 v[112:115], v61, s[4:5]
	global_load_b128 v[146:149], v61, s[4:5] offset:16
	v_mul_u32_u24_e32 v63, 0xcccd, v63
	v_lshrrev_b32_e32 v129, 19, v64
	v_add_nc_u32_e32 v64, 0x1f4, v164
	v_add_nc_u32_e32 v76, 0x320, v164
	;; [unrolled: 1-line block ×3, first 2 shown]
	v_lshrrev_b32_e32 v127, 19, v63
	v_mul_lo_u16 v60, v129, 10
	v_and_b32_e32 v65, 0xffff, v64
	s_mov_b32 s16, 0xe8584caa
	s_mov_b32 s17, 0x3febb67a
	v_mul_lo_u16 v63, v127, 10
	v_sub_nc_u16 v60, v180, v60
	s_mov_b32 s19, 0xbfebb67a
	s_mov_b32 s18, s16
	v_mul_u32_u24_e32 v129, 0xf0, v129
	v_sub_nc_u16 v61, v62, v63
	v_and_b32_e32 v128, 0xffff, v60
	v_add_nc_u32_e32 v62, 0x190, v164
	s_delay_alu instid0(VALU_DEP_3) | instskip(NEXT) | instid1(VALU_DEP_3)
	v_and_b32_e32 v122, 0xffff, v61
	v_lshlrev_b32_e32 v60, 5, v128
	s_delay_alu instid0(VALU_DEP_3) | instskip(NEXT) | instid1(VALU_DEP_3)
	v_and_b32_e32 v63, 0xffff, v62
	v_lshlrev_b32_e32 v61, 5, v122
	s_clause 0x1
	global_load_b128 v[150:153], v60, s[4:5]
	global_load_b128 v[154:157], v61, s[4:5]
	v_mul_u32_u24_e32 v63, 0xcccd, v63
	s_clause 0x1
	global_load_b128 v[158:161], v60, s[4:5] offset:16
	global_load_b128 v[168:171], v61, s[4:5] offset:16
	v_lshlrev_b32_e32 v122, 3, v122
	v_lshrrev_b32_e32 v125, 19, v63
	v_mul_u32_u24_e32 v63, 0xcccd, v65
	v_add_nc_u32_e32 v65, 0x258, v164
	s_delay_alu instid0(VALU_DEP_3) | instskip(NEXT) | instid1(VALU_DEP_3)
	v_mul_lo_u16 v60, v125, 10
	v_lshrrev_b32_e32 v126, 19, v63
	s_delay_alu instid0(VALU_DEP_3) | instskip(SKIP_4) | instid1(VALU_DEP_2)
	v_and_b32_e32 v61, 0xffff, v65
	v_and_b32_e32 v63, 0xffff, v66
	v_mul_u32_u24_e32 v125, 0xf0, v125
	v_sub_nc_u16 v60, v62, v60
	v_mul_lo_u16 v62, v126, 10
	v_and_b32_e32 v135, 0xffff, v60
	v_mul_u32_u24_e32 v60, 0xcccd, v61
	s_delay_alu instid0(VALU_DEP_3) | instskip(SKIP_1) | instid1(VALU_DEP_4)
	v_sub_nc_u16 v61, v64, v62
	v_mul_u32_u24_e32 v62, 0xcccd, v63
	v_lshlrev_b32_e32 v63, 5, v135
	s_delay_alu instid0(VALU_DEP_4) | instskip(NEXT) | instid1(VALU_DEP_4)
	v_lshrrev_b32_e32 v133, 19, v60
	v_and_b32_e32 v134, 0xffff, v61
	s_delay_alu instid0(VALU_DEP_4)
	v_lshrrev_b32_e32 v130, 19, v62
	v_lshlrev_b32_e32 v135, 3, v135
	global_load_b128 v[100:103], v63, s[4:5]
	v_mul_lo_u16 v64, v133, 10
	v_lshlrev_b32_e32 v67, 5, v134
	v_mul_lo_u16 v68, v130, 10
	v_add3_u32 v135, 0, v125, v135
	s_delay_alu instid0(VALU_DEP_4)
	v_sub_nc_u16 v64, v65, v64
	s_clause 0x2
	global_load_b128 v[189:192], v67, s[4:5]
	global_load_b128 v[60:63], v63, s[4:5] offset:16
	global_load_b128 v[88:91], v67, s[4:5] offset:16
	v_sub_nc_u16 v65, v66, v68
	v_and_b32_e32 v66, 0xffff, v76
	v_and_b32_e32 v68, 0xffff, v77
	;; [unrolled: 1-line block ×3, first 2 shown]
	s_delay_alu instid0(VALU_DEP_4) | instskip(NEXT) | instid1(VALU_DEP_4)
	v_and_b32_e32 v140, 0xffff, v65
	v_mul_u32_u24_e32 v64, 0xcccd, v66
	s_delay_alu instid0(VALU_DEP_4) | instskip(NEXT) | instid1(VALU_DEP_4)
	v_mul_u32_u24_e32 v65, 0xcccd, v68
	v_lshlrev_b32_e32 v68, 5, v141
	s_delay_alu instid0(VALU_DEP_4) | instskip(NEXT) | instid1(VALU_DEP_4)
	v_lshlrev_b32_e32 v78, 5, v140
	v_lshrrev_b32_e32 v137, 19, v64
	s_delay_alu instid0(VALU_DEP_4)
	v_lshrrev_b32_e32 v136, 19, v65
	s_clause 0x2
	global_load_b128 v[72:75], v68, s[4:5]
	global_load_b128 v[64:67], v78, s[4:5]
	global_load_b128 v[68:71], v68, s[4:5] offset:16
	v_mul_lo_u16 v79, v137, 10
	v_mul_lo_u16 v80, v136, 10
	s_delay_alu instid0(VALU_DEP_2) | instskip(NEXT) | instid1(VALU_DEP_2)
	v_sub_nc_u16 v81, v76, v79
	v_sub_nc_u16 v80, v77, v80
	global_load_b128 v[76:79], v78, s[4:5] offset:16
	v_and_b32_e32 v139, 0xffff, v81
	v_and_b32_e32 v138, 0xffff, v80
	s_delay_alu instid0(VALU_DEP_2) | instskip(NEXT) | instid1(VALU_DEP_2)
	v_lshlrev_b32_e32 v92, 5, v139
	v_lshlrev_b32_e32 v96, 5, v138
	s_clause 0x3
	global_load_b128 v[84:87], v92, s[4:5]
	global_load_b128 v[80:83], v96, s[4:5]
	global_load_b128 v[92:95], v92, s[4:5] offset:16
	global_load_b128 v[96:99], v96, s[4:5] offset:16
	ds_load_2addr_b64 v[193:196], v177 offset0:104 offset1:204
	ds_load_2addr_b64 v[197:200], v181 offset0:80 offset1:180
	ds_load_2addr_b64 v[201:204], v175 offset0:152 offset1:252
	s_wait_loadcnt_dscnt 0x1302
	v_mul_f64_e32 v[104:105], v[193:194], v[108:109]
	v_mul_f64_e32 v[108:109], v[56:57], v[108:109]
	s_wait_loadcnt 0x11
	v_mul_f64_e32 v[162:163], v[195:196], v[114:115]
	v_mul_f64_e32 v[172:173], v[58:59], v[114:115]
	ds_load_2addr_b64 v[114:117], v186 offset0:48 offset1:148
	s_wait_dscnt 0x2
	v_mul_f64_e32 v[205:206], v[197:198], v[144:145]
	v_mul_f64_e32 v[144:145], v[52:53], v[144:145]
	s_wait_loadcnt 0x10
	v_mul_f64_e32 v[207:208], v[199:200], v[148:149]
	v_mul_f64_e32 v[148:149], v[54:55], v[148:149]
	s_wait_loadcnt_dscnt 0xf00
	v_mul_f64_e32 v[209:210], v[114:115], v[152:153]
	v_mul_f64_e32 v[152:153], v[48:49], v[152:153]
	v_fma_f64 v[104:105], v[56:57], v[106:107], -v[104:105]
	v_fma_f64 v[110:111], v[193:194], v[106:107], v[108:109]
	v_fma_f64 v[56:57], v[58:59], v[112:113], -v[162:163]
	s_wait_loadcnt 0xe
	v_mul_f64_e32 v[162:163], v[116:117], v[156:157]
	v_fma_f64 v[112:113], v[195:196], v[112:113], v[172:173]
	ds_load_2addr_b64 v[193:196], v182 offset0:120 offset1:220
	v_fma_f64 v[106:107], v[52:53], v[142:143], -v[205:206]
	v_fma_f64 v[108:109], v[197:198], v[142:143], v[144:145]
	ds_load_2addr_b64 v[142:145], v183 offset0:96 offset1:196
	s_wait_loadcnt 0xd
	v_mul_f64_e32 v[172:173], v[201:202], v[160:161]
	s_wait_loadcnt 0xc
	v_mul_f64_e32 v[197:198], v[203:204], v[170:171]
	v_mul_f64_e32 v[170:171], v[46:47], v[170:171]
	;; [unrolled: 1-line block ×3, first 2 shown]
	v_fma_f64 v[52:53], v[199:200], v[146:147], v[148:149]
	v_mul_f64_e32 v[156:157], v[50:51], v[156:157]
	v_fma_f64 v[54:55], v[54:55], v[146:147], -v[207:208]
	ds_load_2addr_b64 v[146:149], v178 offset0:64 offset1:164
	s_wait_loadcnt_dscnt 0xb02
	v_mul_f64_e32 v[199:200], v[193:194], v[102:103]
	v_mul_f64_e32 v[205:206], v[40:41], v[102:103]
	v_fma_f64 v[58:59], v[48:49], v[150:151], -v[209:210]
	v_fma_f64 v[114:115], v[114:115], v[150:151], v[152:153]
	ds_load_2addr_b64 v[150:153], v185 offset0:40 offset1:140
	s_wait_loadcnt 0xa
	v_mul_f64_e32 v[207:208], v[195:196], v[191:192]
	v_mul_f64_e32 v[191:192], v[42:43], v[191:192]
	v_mul_u32_u24_e32 v209, 0xf0, v127
	v_fma_f64 v[48:49], v[50:51], v[154:155], -v[162:163]
	s_wait_loadcnt_dscnt 0x902
	v_mul_f64_e32 v[162:163], v[142:143], v[62:63]
	v_mul_f64_e32 v[62:63], v[24:25], v[62:63]
	v_fma_f64 v[50:51], v[44:45], v[158:159], -v[172:173]
	s_wait_loadcnt 0x8
	v_mul_f64_e32 v[172:173], v[144:145], v[90:91]
	v_fma_f64 v[102:103], v[46:47], v[168:169], -v[197:198]
	s_wait_loadcnt_dscnt 0x701
	v_mul_f64_e32 v[197:198], v[146:147], v[74:75]
	v_fma_f64 v[46:47], v[203:204], v[168:169], v[170:171]
	v_fma_f64 v[44:45], v[201:202], v[158:159], v[160:161]
	s_wait_loadcnt 0x6
	v_mul_f64_e32 v[201:202], v[148:149], v[66:67]
	s_wait_loadcnt_dscnt 0x500
	v_mul_f64_e32 v[168:169], v[150:151], v[70:71]
	v_fma_f64 v[116:117], v[116:117], v[154:155], v[156:157]
	ds_load_2addr_b64 v[154:157], v188 offset0:8 offset1:108
	ds_load_2addr_b64 v[158:161], v179 offset0:112 offset1:212
	v_and_b32_e32 v203, 0xffff, v132
	s_wait_loadcnt 0x4
	v_mul_f64_e32 v[170:171], v[152:153], v[78:79]
	v_and_b32_e32 v204, 0xffff, v131
	v_add_f64_e32 v[131:132], v[104:105], v[106:107]
	v_mul_f64_e32 v[74:75], v[28:29], v[74:75]
	v_mul_f64_e32 v[66:67], v[30:31], v[66:67]
	v_fma_f64 v[40:41], v[40:41], v[100:101], -v[199:200]
	v_fma_f64 v[100:101], v[193:194], v[100:101], v[205:206]
	v_mul_f64_e32 v[78:79], v[22:23], v[78:79]
	v_mul_u32_u24_e32 v203, 0xf0, v203
	v_fma_f64 v[42:43], v[42:43], v[189:190], -v[207:208]
	v_fma_f64 v[189:190], v[195:196], v[189:190], v[191:192]
	v_add_f64_e32 v[195:196], v[56:57], v[54:55]
	s_wait_loadcnt_dscnt 0x201
	v_mul_f64_e32 v[193:194], v[156:157], v[82:83]
	s_wait_loadcnt_dscnt 0x0
	v_mul_f64_e32 v[191:192], v[160:161], v[98:99]
	v_mul_f64_e32 v[199:200], v[158:159], v[94:95]
	;; [unrolled: 1-line block ×3, first 2 shown]
	v_fma_f64 v[162:163], v[24:25], v[60:61], -v[162:163]
	v_mul_f64_e32 v[24:25], v[26:27], v[90:91]
	v_mul_f64_e32 v[90:91], v[154:155], v[86:87]
	;; [unrolled: 1-line block ×3, first 2 shown]
	v_fma_f64 v[60:61], v[142:143], v[60:61], v[62:63]
	v_mul_f64_e32 v[82:83], v[38:39], v[82:83]
	v_fma_f64 v[172:173], v[26:27], v[88:89], -v[172:173]
	v_add_f64_e32 v[26:27], v[58:59], v[50:51]
	v_fma_f64 v[197:198], v[28:29], v[72:73], -v[197:198]
	v_mul_f64_e32 v[28:29], v[20:21], v[70:71]
	v_fma_f64 v[201:202], v[30:31], v[64:65], -v[201:202]
	v_fma_f64 v[70:71], v[20:21], v[68:69], -v[168:169]
	v_lshlrev_b32_e32 v31, 3, v128
	v_add_f64_e32 v[127:128], v[48:49], v[102:103]
	v_lshlrev_b32_e32 v20, 3, v123
	v_lshlrev_b32_e32 v30, 3, v124
	v_fma_f64 v[123:124], v[22:23], v[76:77], -v[170:171]
	v_add_f64_e64 v[168:169], v[110:111], -v[108:109]
	v_fma_f64 v[131:132], v[131:132], -0.5, v[16:17]
	v_add_f64_e32 v[170:171], v[18:19], v[56:57]
	v_fma_f64 v[72:73], v[146:147], v[72:73], v[74:75]
	v_add_f64_e32 v[74:75], v[12:13], v[58:59]
	v_add_f64_e64 v[146:147], v[114:115], -v[44:45]
	v_fma_f64 v[64:65], v[148:149], v[64:65], v[66:67]
	v_mul_u32_u24_e32 v21, 0xf0, v204
	v_add3_u32 v210, 0, v203, v20
	v_add3_u32 v129, 0, v129, v31
	s_delay_alu instid0(VALU_DEP_3)
	v_add3_u32 v211, 0, v21, v30
	ds_load_2addr_b64 v[20:23], v165 offset1:100
	v_fma_f64 v[38:39], v[38:39], v[80:81], -v[193:194]
	v_fma_f64 v[193:194], v[195:196], -0.5, v[18:19]
	v_add_f64_e32 v[62:63], v[40:41], v[162:163]
	v_fma_f64 v[142:143], v[144:145], v[88:89], v[24:25]
	v_add_f64_e32 v[144:145], v[16:17], v[104:105]
	v_mul_f64_e32 v[88:89], v[34:35], v[98:99]
	v_fma_f64 v[98:99], v[34:35], v[96:97], -v[191:192]
	v_add_f64_e64 v[191:192], v[112:113], -v[52:53]
	v_add_f64_e32 v[195:196], v[42:43], v[172:173]
	v_fma_f64 v[12:13], v[26:27], -0.5, v[12:13]
	v_fma_f64 v[36:37], v[36:37], v[84:85], -v[90:91]
	v_fma_f64 v[90:91], v[32:33], v[92:93], -v[199:200]
	v_fma_f64 v[148:149], v[150:151], v[68:69], v[28:29]
	v_fma_f64 v[150:151], v[152:153], v[76:77], v[78:79]
	v_add_f64_e32 v[66:67], v[197:198], v[70:71]
	v_fma_f64 v[76:77], v[154:155], v[84:85], v[86:87]
	v_add_f64_e32 v[78:79], v[14:15], v[48:49]
	v_add_f64_e64 v[84:85], v[116:117], -v[46:47]
	v_add_f64_e32 v[86:87], v[8:9], v[40:41]
	v_fma_f64 v[14:15], v[127:128], -0.5, v[14:15]
	v_add_f64_e64 v[127:128], v[100:101], -v[60:61]
	v_add_f64_e32 v[68:69], v[201:202], v[123:124]
	ds_load_2addr_b64 v[16:19], v174 offset0:72 offset1:172
	v_fma_f64 v[152:153], v[158:159], v[92:93], v[94:95]
	v_fma_f64 v[158:159], v[168:169], s[16:17], v[131:132]
	v_add_f64_e32 v[92:93], v[116:117], v[46:47]
	s_wait_alu 0xfffe
	v_fma_f64 v[131:132], v[168:169], s[18:19], v[131:132]
	v_add_f64_e32 v[168:169], v[10:11], v[42:43]
	v_add_f64_e32 v[74:75], v[74:75], v[50:51]
	ds_load_2addr_b64 v[24:27], v176 offset0:144 offset1:244
	ds_load_2addr_b64 v[28:31], v184 offset0:88 offset1:188
	;; [unrolled: 1-line block ×3, first 2 shown]
	global_wb scope:SCOPE_SE
	s_wait_dscnt 0x0
	s_barrier_signal -1
	s_barrier_wait -1
	global_inv scope:SCOPE_SE
	v_add_f64_e64 v[50:51], v[58:59], -v[50:51]
	v_add_f64_e64 v[48:49], v[48:49], -v[102:103]
	v_add_f64_e64 v[40:41], v[40:41], -v[162:163]
	v_add_f64_e64 v[42:43], v[42:43], -v[172:173]
	v_add_f64_e64 v[58:59], v[197:198], -v[70:71]
	v_fma_f64 v[8:9], v[62:63], -0.5, v[8:9]
	v_fma_f64 v[62:63], v[156:157], v[80:81], v[82:83]
	v_add_f64_e32 v[144:145], v[144:145], v[106:107]
	v_add_f64_e32 v[82:83], v[112:113], v[52:53]
	v_fma_f64 v[96:97], v[160:161], v[96:97], v[88:89]
	v_add_f64_e32 v[156:157], v[170:171], v[54:55]
	v_fma_f64 v[160:161], v[191:192], s[16:17], v[193:194]
	v_fma_f64 v[170:171], v[191:192], s[18:19], v[193:194]
	;; [unrolled: 1-line block ×3, first 2 shown]
	v_add_f64_e64 v[193:194], v[189:190], -v[142:143]
	v_fma_f64 v[10:11], v[195:196], -0.5, v[10:11]
	v_fma_f64 v[12:13], v[146:147], s[18:19], v[12:13]
	v_add_f64_e32 v[80:81], v[110:111], v[108:109]
	v_add_f64_e32 v[94:95], v[36:37], v[90:91]
	;; [unrolled: 1-line block ×3, first 2 shown]
	v_add_f64_e64 v[199:200], v[72:73], -v[148:149]
	v_fma_f64 v[4:5], v[66:67], -0.5, v[4:5]
	v_add_f64_e32 v[88:89], v[114:115], v[44:45]
	v_add_f64_e32 v[154:155], v[38:39], v[98:99]
	;; [unrolled: 1-line block ×3, first 2 shown]
	v_fma_f64 v[146:147], v[84:85], s[16:17], v[14:15]
	v_fma_f64 v[14:15], v[84:85], s[18:19], v[14:15]
	v_add_f64_e32 v[86:87], v[86:87], v[162:163]
	v_add_f64_e32 v[66:67], v[20:21], v[110:111]
	;; [unrolled: 1-line block ×5, first 2 shown]
	v_fma_f64 v[6:7], v[68:69], -0.5, v[6:7]
	v_add_f64_e32 v[68:69], v[100:101], v[60:61]
	v_add_f64_e64 v[203:204], v[64:65], -v[150:151]
	v_add_f64_e32 v[205:206], v[189:190], v[142:143]
	ds_store_2addr_b64 v210, v[144:145], v[158:159] offset1:10
	ds_store_b64 v210, v[131:132] offset:160
	ds_store_2addr_b64 v211, v[156:157], v[160:161] offset1:10
	v_fma_f64 v[84:85], v[127:128], s[16:17], v[8:9]
	v_fma_f64 v[8:9], v[127:128], s[18:19], v[8:9]
	v_add3_u32 v158, 0, v209, v122
	v_add_f64_e32 v[116:117], v[18:19], v[116:117]
	v_fma_f64 v[22:23], v[82:83], -0.5, v[22:23]
	v_add_f64_e32 v[82:83], v[2:3], v[38:39]
	v_fma_f64 v[18:19], v[92:93], -0.5, v[18:19]
	ds_store_b64 v211, v[170:171] offset:160
	ds_store_2addr_b64 v129, v[74:75], v[191:192] offset1:10
	v_add_f64_e32 v[74:75], v[168:169], v[172:173]
	v_fma_f64 v[92:93], v[193:194], s[16:17], v[10:11]
	v_add_f64_e32 v[131:132], v[72:73], v[148:149]
	v_add_f64_e32 v[144:145], v[64:65], v[150:151]
	v_add_f64_e32 v[156:157], v[62:63], v[96:97]
	v_fma_f64 v[10:11], v[193:194], s[18:19], v[10:11]
	ds_store_b64 v129, v[12:13] offset:160
	v_add_f64_e32 v[12:13], v[76:77], v[152:153]
	v_fma_f64 v[20:21], v[80:81], -0.5, v[20:21]
	v_add_f64_e32 v[80:81], v[0:1], v[36:37]
	v_fma_f64 v[0:1], v[94:95], -0.5, v[0:1]
	v_add_f64_e32 v[94:95], v[195:196], v[70:71]
	v_fma_f64 v[127:128], v[199:200], s[16:17], v[4:5]
	v_add_f64_e64 v[207:208], v[76:77], -v[152:153]
	v_fma_f64 v[16:17], v[88:89], -0.5, v[16:17]
	v_add_f64_e64 v[88:89], v[62:63], -v[96:97]
	v_fma_f64 v[2:3], v[154:155], -0.5, v[2:3]
	ds_store_2addr_b64 v158, v[78:79], v[146:147] offset1:10
	ds_store_b64 v158, v[14:15] offset:160
	ds_store_2addr_b64 v135, v[86:87], v[84:85] offset1:10
	v_add_f64_e64 v[54:55], v[56:57], -v[54:55]
	v_fma_f64 v[4:5], v[199:200], s[18:19], v[4:5]
	ds_store_b64 v135, v[8:9] offset:160
	v_add_f64_e32 v[8:9], v[28:29], v[72:73]
	v_add_f64_e64 v[72:73], v[104:105], -v[106:107]
	v_add_f64_e32 v[14:15], v[24:25], v[100:101]
	v_fma_f64 v[24:25], v[68:69], -0.5, v[24:25]
	v_add_f64_e32 v[114:115], v[114:115], v[123:124]
	v_fma_f64 v[154:155], v[203:204], s[16:17], v[6:7]
	v_fma_f64 v[84:85], v[205:206], -0.5, v[26:27]
	v_add_f64_e32 v[26:27], v[26:27], v[189:190]
	v_mul_u32_u24_e32 v86, 0xf0, v126
	v_lshlrev_b32_e32 v87, 3, v134
	v_mul_u32_u24_e32 v100, 0xf0, v133
	v_lshlrev_b32_e32 v101, 3, v141
	v_add_f64_e32 v[82:83], v[82:83], v[98:99]
	v_fma_f64 v[104:105], v[156:157], -0.5, v[34:35]
	v_add3_u32 v126, 0, v86, v87
	v_mul_u32_u24_e32 v86, 0xf0, v130
	v_add3_u32 v133, 0, v100, v101
	v_lshlrev_b32_e32 v87, 3, v140
	ds_store_2addr_b64 v126, v[74:75], v[92:93] offset1:10
	ds_store_b64 v126, v[10:11] offset:160
	ds_store_2addr_b64 v133, v[94:95], v[127:128] offset1:10
	v_fma_f64 v[10:11], v[131:132], -0.5, v[28:29]
	v_fma_f64 v[28:29], v[144:145], -0.5, v[30:31]
	v_add_f64_e32 v[56:57], v[34:35], v[62:63]
	v_add_f64_e64 v[62:63], v[201:202], -v[123:124]
	v_add_f64_e64 v[98:99], v[38:39], -v[98:99]
	v_add_f64_e32 v[100:101], v[32:33], v[76:77]
	v_fma_f64 v[12:13], v[12:13], -0.5, v[32:33]
	v_add_f64_e64 v[102:103], v[36:37], -v[90:91]
	v_add_f64_e32 v[30:31], v[30:31], v[64:65]
	v_fma_f64 v[6:7], v[203:204], s[18:19], v[6:7]
	v_fma_f64 v[68:69], v[207:208], s[16:17], v[0:1]
	v_add_f64_e32 v[78:79], v[80:81], v[90:91]
	v_fma_f64 v[80:81], v[88:89], s[16:17], v[2:3]
	v_add3_u32 v127, 0, v86, v87
	v_add_f64_e32 v[86:87], v[66:67], v[108:109]
	v_add_f64_e32 v[44:45], v[112:113], v[44:45]
	v_fma_f64 v[112:113], v[50:51], s[18:19], v[16:17]
	v_fma_f64 v[0:1], v[207:208], s[18:19], v[0:1]
	;; [unrolled: 1-line block ×5, first 2 shown]
	v_add_f64_e32 v[52:53], v[110:111], v[52:53]
	v_fma_f64 v[110:111], v[54:55], s[18:19], v[22:23]
	v_fma_f64 v[54:55], v[54:55], s[16:17], v[22:23]
	ds_store_b64 v133, v[4:5] offset:160
	ds_store_2addr_b64 v127, v[114:115], v[154:155] offset1:10
	v_fma_f64 v[50:51], v[50:51], s[16:17], v[16:17]
	v_add_f64_e32 v[46:47], v[116:117], v[46:47]
	v_fma_f64 v[114:115], v[48:49], s[18:19], v[18:19]
	v_fma_f64 v[48:49], v[48:49], s[16:17], v[18:19]
	v_add_f64_e32 v[60:61], v[14:15], v[60:61]
	v_fma_f64 v[116:117], v[40:41], s[18:19], v[24:25]
	;; [unrolled: 3-line block ×3, first 2 shown]
	v_mul_u32_u24_e32 v4, 0xf0, v137
	v_lshlrev_b32_e32 v5, 3, v139
	v_mul_u32_u24_e32 v32, 0xf0, v136
	v_lshlrev_b32_e32 v33, 3, v138
	v_fma_f64 v[42:43], v[42:43], s[16:17], v[84:85]
	v_add_f64_e32 v[84:85], v[8:9], v[148:149]
	v_add3_u32 v128, 0, v4, v5
	v_fma_f64 v[124:125], v[62:63], s[18:19], v[28:29]
	v_add3_u32 v130, 0, v32, v33
	v_fma_f64 v[28:29], v[62:63], s[16:17], v[28:29]
	v_add_f64_e32 v[56:57], v[56:57], v[96:97]
	v_fma_f64 v[96:97], v[98:99], s[18:19], v[104:105]
	v_fma_f64 v[122:123], v[58:59], s[18:19], v[10:11]
	v_add_f64_e32 v[62:63], v[100:101], v[152:153]
	v_fma_f64 v[100:101], v[102:103], s[18:19], v[12:13]
	v_fma_f64 v[98:99], v[98:99], s[16:17], v[104:105]
	;; [unrolled: 1-line block ×4, first 2 shown]
	v_add_f64_e32 v[30:31], v[30:31], v[150:151]
	v_mul_lo_u16 v104, 0x89, v121
	ds_store_b64 v127, v[6:7] offset:160
	ds_store_2addr_b64 v128, v[78:79], v[68:69] offset1:10
	ds_store_b64 v128, v[0:1] offset:160
	ds_store_2addr_b64 v130, v[82:83], v[80:81] offset1:10
	ds_store_b64 v130, v[2:3] offset:160
	global_wb scope:SCOPE_SE
	s_wait_dscnt 0x0
	s_barrier_signal -1
	s_barrier_wait -1
	global_inv scope:SCOPE_SE
	ds_load_2addr_b64 v[4:7], v165 offset1:100
	ds_load_2addr_b64 v[0:3], v174 offset0:72 offset1:172
	ds_load_2addr_b64 v[92:95], v184 offset0:88 offset1:188
	;; [unrolled: 1-line block ×14, first 2 shown]
	global_wb scope:SCOPE_SE
	s_wait_dscnt 0x0
	s_barrier_signal -1
	s_barrier_wait -1
	global_inv scope:SCOPE_SE
	ds_store_2addr_b64 v210, v[86:87], v[106:107] offset1:10
	ds_store_b64 v210, v[108:109] offset:160
	ds_store_2addr_b64 v211, v[52:53], v[110:111] offset1:10
	ds_store_b64 v211, v[54:55] offset:160
	ds_store_2addr_b64 v129, v[44:45], v[112:113] offset1:10
	v_mul_lo_u16 v44, 0x89, v120
	v_lshrrev_b16 v189, 12, v104
	ds_store_b64 v129, v[50:51] offset:160
	ds_store_2addr_b64 v158, v[46:47], v[114:115] offset1:10
	ds_store_b64 v158, v[48:49] offset:160
	ds_store_2addr_b64 v135, v[60:61], v[116:117] offset1:10
	ds_store_b64 v135, v[24:25] offset:160
	ds_store_2addr_b64 v126, v[26:27], v[40:41] offset1:10
	v_lshrrev_b16 v191, 12, v44
	v_mul_lo_u16 v45, v189, 30
	ds_store_b64 v126, v[42:43] offset:160
	ds_store_2addr_b64 v133, v[84:85], v[122:123] offset1:10
	ds_store_b64 v133, v[58:59] offset:160
	ds_store_2addr_b64 v127, v[30:31], v[124:125] offset1:10
	v_mul_lo_u16 v25, v191, 30
	v_sub_nc_u16 v24, v164, v45
	ds_store_b64 v127, v[28:29] offset:160
	ds_store_2addr_b64 v128, v[62:63], v[100:101] offset1:10
	ds_store_b64 v128, v[102:103] offset:160
	ds_store_2addr_b64 v130, v[56:57], v[96:97] offset1:10
	ds_store_b64 v130, v[98:99] offset:160
	global_wb scope:SCOPE_SE
	s_wait_dscnt 0x0
	v_sub_nc_u16 v25, v119, v25
	v_and_b32_e32 v192, 0xff, v24
	s_barrier_signal -1
	s_barrier_wait -1
	global_inv scope:SCOPE_SE
	v_and_b32_e32 v190, 0xff, v25
	v_mul_u32_u24_e32 v24, 9, v192
	v_mul_u32_u24_e32 v26, 0x8889, v118
	v_and_b32_e32 v189, 0xffff, v189
	v_lshlrev_b32_e32 v192, 3, v192
	v_mul_u32_u24_e32 v25, 9, v190
	v_lshlrev_b32_e32 v24, 4, v24
	v_lshrrev_b32_e32 v194, 20, v26
	v_mul_u32_u24_e32 v189, 0x960, v189
	v_and_b32_e32 v191, 0xffff, v191
	v_lshlrev_b32_e32 v25, 4, v25
	s_clause 0x7
	global_load_b128 v[96:99], v24, s[4:5] offset:336
	global_load_b128 v[102:105], v25, s[4:5] offset:336
	;; [unrolled: 1-line block ×8, first 2 shown]
	v_mul_lo_u16 v26, v194, 30
	v_mul_u32_u24_e32 v191, 0x960, v191
	s_delay_alu instid0(VALU_DEP_2) | instskip(NEXT) | instid1(VALU_DEP_1)
	v_sub_nc_u16 v26, v180, v26
	v_and_b32_e32 v193, 0xffff, v26
	s_delay_alu instid0(VALU_DEP_1) | instskip(NEXT) | instid1(VALU_DEP_1)
	v_mul_u32_u24_e32 v26, 9, v193
	v_lshlrev_b32_e32 v28, 4, v26
	s_clause 0x12
	global_load_b128 v[142:145], v25, s[4:5] offset:320
	global_load_b128 v[146:149], v28, s[4:5] offset:320
	;; [unrolled: 1-line block ×19, first 2 shown]
	ds_load_2addr_b64 v[123:126], v184 offset0:88 offset1:188
	ds_load_2addr_b64 v[211:214], v186 offset0:48 offset1:148
	;; [unrolled: 1-line block ×6, first 2 shown]
	s_wait_loadcnt_dscnt 0x1a05
	v_mul_f64_e32 v[100:101], v[123:124], v[98:99]
	v_mul_f64_e32 v[106:107], v[92:93], v[98:99]
	s_wait_loadcnt 0x19
	v_mul_f64_e32 v[116:117], v[125:126], v[104:105]
	v_mul_f64_e32 v[104:105], v[94:95], v[104:105]
	s_wait_loadcnt_dscnt 0x1804
	v_mul_f64_e32 v[127:128], v[211:212], v[110:111]
	v_mul_f64_e32 v[110:111], v[88:89], v[110:111]
	s_wait_loadcnt 0x16
	v_mul_f64_e32 v[162:163], v[76:77], v[121:122]
	s_wait_loadcnt_dscnt 0x1503
	v_mul_f64_e32 v[172:173], v[217:218], v[132:133]
	v_fma_f64 v[98:99], v[92:93], v[96:97], -v[100:101]
	v_fma_f64 v[106:107], v[123:124], v[96:97], v[106:107]
	v_fma_f64 v[100:101], v[94:95], v[102:103], -v[116:117]
	v_mul_f64_e32 v[96:97], v[213:214], v[114:115]
	v_mul_f64_e32 v[116:117], v[90:91], v[114:115]
	v_fma_f64 v[102:103], v[125:126], v[102:103], v[104:105]
	v_mul_f64_e32 v[104:105], v[215:216], v[121:122]
	v_fma_f64 v[122:123], v[88:89], v[108:109], -v[127:128]
	ds_load_2addr_b64 v[92:95], v183 offset0:96 offset1:196
	v_mul_f64_e32 v[88:89], v[78:79], v[132:133]
	v_fma_f64 v[114:115], v[211:212], v[108:109], v[110:111]
	v_fma_f64 v[128:129], v[78:79], v[130:131], -v[172:173]
	s_wait_loadcnt 0x12
	v_mul_f64_e32 v[78:79], v[72:73], v[144:145]
	s_wait_loadcnt 0x8
	v_mul_f64_e32 v[172:173], v[16:17], v[86:87]
	s_wait_dscnt 0x0
	v_mul_f64_e32 v[110:111], v[94:95], v[140:141]
	v_fma_f64 v[124:125], v[90:91], v[112:113], -v[96:97]
	v_fma_f64 v[116:117], v[213:214], v[112:113], v[116:117]
	v_mul_f64_e32 v[90:91], v[92:93], v[136:137]
	v_mul_f64_e32 v[112:113], v[70:71], v[140:141]
	v_fma_f64 v[126:127], v[76:77], v[119:120], -v[104:105]
	v_fma_f64 v[118:119], v[215:216], v[119:120], v[162:163]
	ds_load_2addr_b64 v[211:214], v187 offset0:32 offset1:132
	v_fma_f64 v[120:121], v[217:218], v[130:131], v[88:89]
	ds_load_2addr_b64 v[215:218], v182 offset0:120 offset1:220
	v_mul_f64_e32 v[96:97], v[68:69], v[136:137]
	v_mul_f64_e32 v[104:105], v[221:222], v[148:149]
	;; [unrolled: 1-line block ×7, first 2 shown]
	v_fma_f64 v[110:111], v[70:71], v[138:139], -v[110:111]
	s_wait_dscnt 0x1
	v_mul_f64_e32 v[70:71], v[211:212], v[156:157]
	s_wait_dscnt 0x0
	v_mul_f64_e32 v[144:145], v[215:216], v[170:171]
	v_fma_f64 v[108:109], v[68:69], v[134:135], -v[90:91]
	v_mul_f64_e32 v[68:69], v[213:214], v[152:153]
	v_fma_f64 v[88:89], v[94:95], v[138:139], v[112:113]
	v_mul_f64_e32 v[138:139], v[217:218], v[160:161]
	v_mul_f64_e32 v[94:95], v[36:37], v[156:157]
	;; [unrolled: 1-line block ×4, first 2 shown]
	v_fma_f64 v[90:91], v[92:93], v[134:135], v[96:97]
	v_mul_f64_e32 v[92:93], v[38:39], v[152:153]
	v_fma_f64 v[134:135], v[74:75], v[146:147], -v[104:105]
	v_fma_f64 v[96:97], v[221:222], v[146:147], v[130:131]
	v_mul_f64_e32 v[146:147], v[225:226], v[197:198]
	v_mul_f64_e32 v[152:153], v[82:83], v[197:198]
	;; [unrolled: 1-line block ×5, first 2 shown]
	v_fma_f64 v[136:137], v[72:73], v[142:143], -v[76:77]
	v_fma_f64 v[112:113], v[219:220], v[142:143], v[78:79]
	ds_load_2addr_b64 v[72:75], v177 offset0:104 offset1:204
	ds_load_2addr_b64 v[76:79], v178 offset0:64 offset1:164
	v_fma_f64 v[104:105], v[36:37], v[154:155], -v[70:71]
	s_wait_dscnt 0x1
	v_mul_f64_e32 v[170:171], v[72:73], v[86:87]
	v_fma_f64 v[130:131], v[38:39], v[150:151], -v[68:69]
	ds_load_2addr_b64 v[68:71], v175 offset0:152 offset1:252
	v_fma_f64 v[142:143], v[34:35], v[158:159], -v[138:139]
	v_fma_f64 v[138:139], v[217:218], v[158:159], v[140:141]
	v_fma_f64 v[140:141], v[32:33], v[168:169], -v[144:145]
	ds_load_2addr_b64 v[36:39], v179 offset0:112 offset1:212
	ds_load_2addr_b64 v[32:35], v174 offset0:72 offset1:172
	v_fma_f64 v[132:133], v[213:214], v[150:151], v[92:93]
	v_fma_f64 v[92:93], v[211:212], v[154:155], v[94:95]
	;; [unrolled: 1-line block ×3, first 2 shown]
	v_fma_f64 v[86:87], v[82:83], v[195:196], -v[146:147]
	v_fma_f64 v[82:83], v[225:226], v[195:196], v[152:153]
	s_wait_loadcnt 0x7
	v_mul_f64_e32 v[144:145], v[74:75], v[62:63]
	v_mul_f64_e32 v[146:147], v[18:19], v[62:63]
	v_fma_f64 v[80:81], v[80:81], v[199:200], -v[156:157]
	s_wait_loadcnt_dscnt 0x603
	v_mul_f64_e32 v[148:149], v[76:77], v[58:59]
	v_mul_f64_e32 v[150:151], v[20:21], v[58:59]
	v_fma_f64 v[58:59], v[223:224], v[199:200], v[160:161]
	s_wait_loadcnt 0x5
	v_mul_f64_e32 v[156:157], v[78:79], v[54:55]
	v_mul_f64_e32 v[158:159], v[22:23], v[54:55]
	v_fma_f64 v[62:63], v[66:67], v[203:204], -v[162:163]
	s_wait_loadcnt_dscnt 0x402
	v_mul_f64_e32 v[152:153], v[68:69], v[50:51]
	v_fma_f64 v[54:55], v[229:230], v[203:204], v[197:198]
	v_mul_f64_e32 v[66:67], v[12:13], v[50:51]
	s_wait_loadcnt 0x2
	v_mul_f64_e32 v[160:161], v[70:71], v[42:43]
	s_wait_dscnt 0x1
	v_mul_f64_e32 v[154:155], v[36:37], v[46:47]
	v_fma_f64 v[50:51], v[64:65], v[207:208], -v[201:202]
	v_mul_f64_e32 v[168:169], v[8:9], v[46:47]
	s_wait_loadcnt_dscnt 0x100
	v_mul_f64_e32 v[162:163], v[34:35], v[26:27]
	v_fma_f64 v[46:47], v[227:228], v[207:208], v[205:206]
	v_mul_f64_e32 v[42:43], v[14:15], v[42:43]
	s_wait_loadcnt 0x0
	v_mul_f64_e32 v[64:65], v[38:39], v[30:31]
	v_mul_f64_e32 v[26:27], v[2:3], v[26:27]
	;; [unrolled: 1-line block ×3, first 2 shown]
	v_add_f64_e64 v[197:198], v[110:111], -v[128:129]
	v_add_f64_e32 v[199:200], v[6:7], v[100:101]
	v_add_f64_e32 v[205:206], v[0:1], v[104:105]
	v_fma_f64 v[30:31], v[16:17], v[84:85], -v[170:171]
	v_fma_f64 v[16:17], v[72:73], v[84:85], v[172:173]
	v_add_f64_e32 v[84:85], v[102:103], v[88:89]
	ds_load_2addr_b64 v[170:173], v165 offset1:100
	v_add_f64_e64 v[213:214], v[120:121], -v[88:89]
	global_wb scope:SCOPE_SE
	s_wait_dscnt 0x0
	s_barrier_signal -1
	s_barrier_wait -1
	global_inv scope:SCOPE_SE
	v_fma_f64 v[72:73], v[18:19], v[60:61], -v[144:145]
	v_fma_f64 v[60:61], v[74:75], v[60:61], v[146:147]
	v_add_f64_e64 v[144:145], v[130:131], -v[142:143]
	v_fma_f64 v[20:21], v[20:21], v[56:57], -v[148:149]
	v_fma_f64 v[56:57], v[76:77], v[56:57], v[150:151]
	v_add_f64_e32 v[76:77], v[100:101], v[110:111]
	v_fma_f64 v[22:23], v[22:23], v[52:53], -v[156:157]
	v_fma_f64 v[18:19], v[78:79], v[52:53], v[158:159]
	v_add_f64_e64 v[146:147], v[62:63], -v[86:87]
	v_fma_f64 v[52:53], v[12:13], v[48:49], -v[152:153]
	v_add_f64_e64 v[148:149], v[132:133], -v[138:139]
	v_fma_f64 v[12:13], v[68:69], v[48:49], v[66:67]
	v_fma_f64 v[14:15], v[14:15], v[40:41], -v[160:161]
	v_fma_f64 v[74:75], v[8:9], v[44:45], -v[154:155]
	v_add_f64_e32 v[48:49], v[98:99], v[108:109]
	v_add_f64_e32 v[66:67], v[122:123], v[126:127]
	;; [unrolled: 1-line block ×3, first 2 shown]
	v_fma_f64 v[8:9], v[36:37], v[44:45], v[168:169]
	v_fma_f64 v[36:37], v[2:3], v[24:25], -v[162:163]
	v_add_f64_e32 v[44:45], v[140:141], v[80:81]
	v_add_f64_e32 v[78:79], v[104:105], v[50:51]
	v_fma_f64 v[2:3], v[70:71], v[40:41], v[42:43]
	v_fma_f64 v[40:41], v[10:11], v[28:29], -v[64:65]
	v_add_f64_e32 v[42:43], v[114:115], v[118:119]
	v_add_f64_e32 v[64:65], v[106:107], v[90:91]
	v_add_f64_e32 v[70:71], v[116:117], v[120:121]
	v_fma_f64 v[24:25], v[34:35], v[24:25], v[26:27]
	v_fma_f64 v[10:11], v[38:39], v[28:29], v[195:196]
	v_add_f64_e32 v[26:27], v[94:95], v[58:59]
	v_add_f64_e32 v[28:29], v[92:93], v[46:47]
	v_add_f64_e64 v[34:35], v[98:99], -v[122:123]
	v_add_f64_e64 v[38:39], v[108:109], -v[126:127]
	;; [unrolled: 1-line block ×9, first 2 shown]
	v_add_f64_e32 v[168:169], v[4:5], v[98:99]
	v_add_f64_e64 v[195:196], v[100:101], -v[124:125]
	v_add_f64_e64 v[201:202], v[30:31], -v[20:21]
	;; [unrolled: 1-line block ×3, first 2 shown]
	v_add_f64_e32 v[209:210], v[172:173], v[102:103]
	v_fma_f64 v[84:85], v[84:85], -0.5, v[172:173]
	v_add_f64_e32 v[215:216], v[130:131], v[62:63]
	v_add_f64_e32 v[144:145], v[144:145], v[146:147]
	v_add_f64_e64 v[98:99], v[98:99], -v[108:109]
	v_add_f64_e64 v[203:204], v[74:75], -v[52:53]
	v_fma_f64 v[48:49], v[48:49], -0.5, v[4:5]
	v_fma_f64 v[4:5], v[66:67], -0.5, v[4:5]
	;; [unrolled: 1-line block ×4, first 2 shown]
	v_add_f64_e64 v[68:69], v[8:9], -v[12:13]
	v_add_f64_e64 v[76:77], v[20:21], -v[30:31]
	v_fma_f64 v[44:45], v[44:45], -0.5, v[0:1]
	v_fma_f64 v[0:1], v[78:79], -0.5, v[0:1]
	v_add_f64_e32 v[78:79], v[170:171], v[106:107]
	v_fma_f64 v[42:43], v[42:43], -0.5, v[170:171]
	v_fma_f64 v[64:65], v[64:65], -0.5, v[170:171]
	;; [unrolled: 1-line block ×3, first 2 shown]
	v_add_f64_e64 v[170:171], v[124:125], -v[100:101]
	v_add_f64_e32 v[172:173], v[32:33], v[92:93]
	v_fma_f64 v[26:27], v[26:27], -0.5, v[32:33]
	v_fma_f64 v[28:29], v[28:29], -0.5, v[32:33]
	v_add_f64_e64 v[32:33], v[128:129], -v[110:111]
	v_add_f64_e64 v[211:212], v[52:53], -v[74:75]
	v_add_f64_e32 v[34:35], v[34:35], v[38:39]
	v_add_f64_e64 v[38:39], v[56:57], -v[16:17]
	v_add_f64_e64 v[146:147], v[12:13], -v[8:9]
	v_add_f64_e32 v[148:149], v[148:149], v[150:151]
	v_add_f64_e64 v[150:151], v[104:105], -v[140:141]
	v_add_f64_e32 v[152:153], v[152:153], v[154:155]
	;; [unrolled: 2-line block ×5, first 2 shown]
	v_add_f64_e64 v[197:198], v[60:61], -v[18:19]
	v_fma_f64 v[215:216], v[215:216], -0.5, v[36:37]
	v_add_f64_e64 v[100:101], v[100:101], -v[110:111]
	v_add_f64_e32 v[201:202], v[201:202], v[203:204]
	v_add_f64_e64 v[203:204], v[10:11], -v[2:3]
	v_add_f64_e32 v[68:69], v[207:208], v[68:69]
	v_add_f64_e64 v[207:208], v[140:141], -v[104:105]
	v_add_f64_e64 v[104:105], v[104:105], -v[50:51]
	v_add_f64_e32 v[78:79], v[78:79], v[114:115]
	v_add_f64_e32 v[172:173], v[172:173], v[94:95]
	;; [unrolled: 1-line block ×3, first 2 shown]
	v_add_f64_e64 v[170:171], v[80:81], -v[50:51]
	v_add_f64_e32 v[76:77], v[76:77], v[211:212]
	v_add_f64_e64 v[211:212], v[22:23], -v[72:73]
	v_add_f64_e32 v[38:39], v[38:39], v[146:147]
	;; [unrolled: 2-line block ×6, first 2 shown]
	v_add_f64_e32 v[170:171], v[207:208], v[170:171]
	v_add_f64_e64 v[207:208], v[90:91], -v[118:119]
	v_add_f64_e32 v[146:147], v[211:212], v[146:147]
	v_add_f64_e64 v[211:212], v[114:115], -v[106:107]
	v_add_f64_e64 v[106:107], v[106:107], -v[90:91]
	v_add_f64_e32 v[154:155], v[154:155], v[162:163]
	v_add_f64_e64 v[162:163], v[118:119], -v[90:91]
	v_add_f64_e32 v[78:79], v[78:79], v[90:91]
	v_add_f64_e32 v[203:204], v[203:204], v[207:208]
	v_add_f64_e64 v[207:208], v[102:103], -v[116:117]
	s_delay_alu instid0(VALU_DEP_4) | instskip(SKIP_1) | instid1(VALU_DEP_1)
	v_add_f64_e32 v[162:163], v[211:212], v[162:163]
	v_add_f64_e64 v[211:212], v[88:89], -v[120:121]
	v_add_f64_e32 v[207:208], v[207:208], v[211:212]
	v_add_f64_e64 v[211:212], v[116:117], -v[102:103]
	v_add_f64_e64 v[102:103], v[102:103], -v[88:89]
	s_delay_alu instid0(VALU_DEP_2) | instskip(SKIP_1) | instid1(VALU_DEP_1)
	v_add_f64_e32 v[211:212], v[211:212], v[213:214]
	v_add_f64_e32 v[213:214], v[142:143], v[86:87]
	v_fma_f64 v[213:214], v[213:214], -0.5, v[36:37]
	v_add_f64_e32 v[36:37], v[36:37], v[130:131]
	v_add_f64_e64 v[130:131], v[130:131], -v[62:63]
	s_delay_alu instid0(VALU_DEP_2) | instskip(SKIP_1) | instid1(VALU_DEP_2)
	v_add_f64_e32 v[36:37], v[36:37], v[142:143]
	v_add_f64_e64 v[142:143], v[142:143], -v[86:87]
	v_add_f64_e32 v[36:37], v[36:37], v[86:87]
	v_add_f64_e32 v[86:87], v[168:169], v[122:123]
	v_add_f64_e64 v[122:123], v[122:123], -v[126:127]
	v_add_f64_e32 v[168:169], v[30:31], v[74:75]
	s_delay_alu instid0(VALU_DEP_4) | instskip(NEXT) | instid1(VALU_DEP_4)
	v_add_f64_e32 v[36:37], v[36:37], v[62:63]
	v_add_f64_e32 v[86:87], v[86:87], v[126:127]
	;; [unrolled: 1-line block ×3, first 2 shown]
	v_add_f64_e64 v[124:125], v[124:125], -v[128:129]
	v_fma_f64 v[168:169], v[168:169], -0.5, v[136:137]
	v_add_f64_e32 v[199:200], v[72:73], v[40:41]
	v_fma_f64 v[62:63], v[106:107], s[0:1], v[4:5]
	v_fma_f64 v[4:5], v[106:107], s[2:3], v[4:5]
	v_add_f64_e32 v[86:87], v[86:87], v[108:109]
	v_add_f64_e32 v[126:127], v[126:127], v[128:129]
	;; [unrolled: 1-line block ×4, first 2 shown]
	v_fma_f64 v[199:200], v[199:200], -0.5, v[134:135]
	s_delay_alu instid0(VALU_DEP_4) | instskip(NEXT) | instid1(VALU_DEP_4)
	v_add_f64_e32 v[110:111], v[126:127], v[110:111]
	v_fma_f64 v[128:129], v[128:129], -0.5, v[136:137]
	v_add_f64_e32 v[136:137], v[136:137], v[30:31]
	v_add_f64_e64 v[126:127], v[56:57], -v[12:13]
	v_add_f64_e64 v[30:31], v[30:31], -v[74:75]
	v_fma_f64 v[108:109], v[108:109], -0.5, v[112:113]
	s_delay_alu instid0(VALU_DEP_4) | instskip(SKIP_1) | instid1(VALU_DEP_2)
	v_add_f64_e32 v[136:137], v[136:137], v[20:21]
	v_add_f64_e64 v[20:21], v[20:21], -v[52:53]
	v_add_f64_e32 v[52:53], v[136:137], v[52:53]
	v_add_f64_e32 v[136:137], v[205:206], v[140:141]
	v_add_f64_e64 v[140:141], v[140:141], -v[80:81]
	v_add_f64_e32 v[205:206], v[138:139], v[82:83]
	s_delay_alu instid0(VALU_DEP_4) | instskip(NEXT) | instid1(VALU_DEP_4)
	v_add_f64_e32 v[52:53], v[52:53], v[74:75]
	v_add_f64_e32 v[80:81], v[136:137], v[80:81]
	;; [unrolled: 1-line block ×3, first 2 shown]
	s_delay_alu instid0(VALU_DEP_4)
	v_fma_f64 v[205:206], v[205:206], -0.5, v[24:25]
	v_fma_f64 v[74:75], v[102:103], s[0:1], v[66:67]
	v_fma_f64 v[66:67], v[102:103], s[2:3], v[66:67]
	v_add_f64_e32 v[50:51], v[80:81], v[50:51]
	v_fma_f64 v[136:137], v[136:137], -0.5, v[134:135]
	v_add_f64_e32 v[134:135], v[134:135], v[72:73]
	v_add_f64_e32 v[80:81], v[96:97], v[60:61]
	v_add_f64_e64 v[72:73], v[72:73], -v[40:41]
	s_delay_alu instid0(VALU_DEP_3) | instskip(SKIP_1) | instid1(VALU_DEP_2)
	v_add_f64_e32 v[134:135], v[134:135], v[22:23]
	v_add_f64_e64 v[22:23], v[22:23], -v[14:15]
	v_add_f64_e32 v[14:15], v[134:135], v[14:15]
	v_add_f64_e32 v[134:135], v[132:133], v[54:55]
	s_delay_alu instid0(VALU_DEP_2) | instskip(NEXT) | instid1(VALU_DEP_2)
	v_add_f64_e32 v[14:15], v[14:15], v[40:41]
	v_fma_f64 v[134:135], v[134:135], -0.5, v[24:25]
	v_add_f64_e32 v[24:25], v[24:25], v[132:133]
	s_delay_alu instid0(VALU_DEP_1) | instskip(SKIP_1) | instid1(VALU_DEP_2)
	v_add_f64_e32 v[24:25], v[24:25], v[138:139]
	v_add_f64_e64 v[138:139], v[138:139], -v[82:83]
	v_add_f64_e32 v[24:25], v[24:25], v[82:83]
	v_add_f64_e64 v[82:83], v[114:115], -v[118:119]
	v_add_f64_e32 v[114:115], v[209:210], v[116:117]
	v_add_f64_e64 v[116:117], v[116:117], -v[120:121]
	s_delay_alu instid0(VALU_DEP_4) | instskip(NEXT) | instid1(VALU_DEP_4)
	v_add_f64_e32 v[24:25], v[24:25], v[54:55]
	v_fma_f64 v[118:119], v[82:83], s[2:3], v[48:49]
	s_delay_alu instid0(VALU_DEP_4)
	v_add_f64_e32 v[114:115], v[114:115], v[120:121]
	v_fma_f64 v[48:49], v[82:83], s[0:1], v[48:49]
	v_add_f64_e64 v[120:121], v[132:133], -v[54:55]
	v_fma_f64 v[132:133], v[138:139], s[0:1], v[215:216]
	v_fma_f64 v[62:63], v[82:83], s[6:7], v[62:63]
	;; [unrolled: 1-line block ×8, first 2 shown]
	v_add_f64_e32 v[88:89], v[114:115], v[88:89]
	v_fma_f64 v[48:49], v[106:107], s[10:11], v[48:49]
	v_fma_f64 v[106:107], v[138:139], s[2:3], v[215:216]
	;; [unrolled: 1-line block ×11, first 2 shown]
	v_lshlrev_b32_e32 v215, 3, v193
	v_fma_f64 v[118:119], v[152:153], s[12:13], v[118:119]
	v_fma_f64 v[48:49], v[152:153], s[12:13], v[48:49]
	;; [unrolled: 1-line block ×23, first 2 shown]
	v_add_f64_e32 v[205:206], v[56:57], v[12:13]
	v_fma_f64 v[34:35], v[203:204], s[12:13], v[34:35]
	v_fma_f64 v[42:43], v[203:204], s[12:13], v[42:43]
	;; [unrolled: 1-line block ×5, first 2 shown]
	v_mul_f64_e32 v[160:161], s[12:13], v[120:121]
	v_fma_f64 v[102:103], v[205:206], -0.5, v[112:113]
	v_add_f64_e32 v[205:206], v[112:113], v[16:17]
	v_add_f64_e64 v[16:17], v[16:17], -v[8:9]
	v_fma_f64 v[112:113], v[126:127], s[2:3], v[168:169]
	v_fma_f64 v[168:169], v[126:127], s[0:1], v[168:169]
	;; [unrolled: 1-line block ×3, first 2 shown]
	v_mul_f64_e32 v[148:149], s[14:15], v[138:139]
	v_mul_f64_e32 v[156:157], s[6:7], v[134:135]
	v_fma_f64 v[160:161], v[130:131], s[0:1], -v[160:161]
	v_fma_f64 v[213:214], v[30:31], s[2:3], v[102:103]
	v_add_f64_e32 v[56:57], v[205:206], v[56:57]
	v_fma_f64 v[205:206], v[16:17], s[0:1], v[128:129]
	v_fma_f64 v[128:129], v[16:17], s[2:3], v[128:129]
	;; [unrolled: 1-line block ×7, first 2 shown]
	v_fma_f64 v[148:149], v[142:143], s[6:7], -v[148:149]
	v_fma_f64 v[156:157], v[132:133], s[14:15], v[156:157]
	v_mul_f64_e32 v[132:133], s[10:11], v[132:133]
	v_fma_f64 v[116:117], v[20:21], s[10:11], v[213:214]
	v_add3_u32 v214, 0, v189, v192
	v_lshlrev_b32_e32 v192, 3, v190
	v_fma_f64 v[189:190], v[122:123], s[0:1], v[64:65]
	v_fma_f64 v[64:65], v[122:123], s[2:3], v[64:65]
	;; [unrolled: 1-line block ×7, first 2 shown]
	v_add_f64_e32 v[128:129], v[60:61], v[10:11]
	v_fma_f64 v[20:21], v[20:21], s[6:7], v[102:103]
	v_add_f64_e32 v[102:103], v[18:19], v[2:3]
	v_add_f64_e64 v[205:206], v[18:19], -v[2:3]
	v_add_f64_e64 v[60:61], v[60:61], -v[10:11]
	v_add_f64_e32 v[18:19], v[80:81], v[18:19]
	v_add_f64_e32 v[122:123], v[86:87], v[36:37]
	v_add_f64_e64 v[36:37], v[86:87], -v[36:37]
	v_fma_f64 v[86:87], v[124:125], s[0:1], v[84:85]
	v_fma_f64 v[84:85], v[124:125], s[2:3], v[84:85]
	;; [unrolled: 1-line block ×3, first 2 shown]
	v_mul_u32_u24_e32 v213, 0x960, v194
	v_add_f64_e32 v[12:13], v[56:57], v[12:13]
	v_add_f64_e32 v[56:57], v[50:51], v[14:15]
	v_add_f64_e64 v[14:15], v[50:51], -v[14:15]
	v_fma_f64 v[54:55], v[134:135], s[14:15], v[132:133]
	v_fma_f64 v[116:117], v[68:69], s[12:13], v[116:117]
	;; [unrolled: 1-line block ×4, first 2 shown]
	v_add_f64_e64 v[98:99], v[46:47], -v[58:59]
	v_fma_f64 v[144:145], v[38:39], s[12:13], v[168:169]
	v_mul_f64_e32 v[168:169], s[0:1], v[209:210]
	v_fma_f64 v[108:109], v[201:202], s[12:13], v[108:109]
	v_fma_f64 v[126:127], v[201:202], s[12:13], v[126:127]
	v_fma_f64 v[128:129], v[128:129], -0.5, v[96:97]
	v_fma_f64 v[30:31], v[38:39], s[12:13], v[30:31]
	v_fma_f64 v[96:97], v[102:103], -0.5, v[96:97]
	v_fma_f64 v[102:103], v[205:206], s[2:3], v[199:200]
	v_fma_f64 v[199:200], v[205:206], s[0:1], v[199:200]
	;; [unrolled: 1-line block ×7, first 2 shown]
	v_add_f64_e32 v[2:3], v[18:19], v[2:3]
	v_add_f64_e32 v[8:9], v[12:13], v[8:9]
	v_mul_f64_e32 v[201:202], s[6:7], v[116:117]
	v_fma_f64 v[90:91], v[162:163], s[12:13], v[189:190]
	v_fma_f64 v[64:65], v[162:163], s[12:13], v[64:65]
	v_mul_f64_e32 v[112:113], s[0:1], v[144:145]
	v_fma_f64 v[168:169], v[106:107], s[12:13], v[168:169]
	v_fma_f64 v[40:41], v[22:23], s[0:1], v[128:129]
	;; [unrolled: 1-line block ×9, first 2 shown]
	v_add_f64_e64 v[205:206], v[92:93], -v[94:95]
	v_fma_f64 v[86:87], v[211:212], s[12:13], v[86:87]
	v_fma_f64 v[84:85], v[211:212], s[12:13], v[84:85]
	v_add_f64_e32 v[2:3], v[2:3], v[10:11]
	v_fma_f64 v[68:69], v[108:109], s[14:15], v[201:202]
	v_add3_u32 v202, 0, v191, v192
	v_add_f64_e32 v[191:192], v[62:63], v[156:157]
	v_add_f64_e64 v[62:63], v[62:63], -v[156:157]
	v_add_f64_e32 v[156:157], v[48:49], v[160:161]
	v_add_f64_e64 v[48:49], v[48:49], -v[160:161]
	v_add_f64_e32 v[160:161], v[110:111], v[52:53]
	v_add_f64_e32 v[193:194], v[118:119], v[168:169]
	v_add_f64_e64 v[118:119], v[118:119], -v[168:169]
	v_add_f64_e32 v[168:169], v[4:5], v[148:149]
	v_fma_f64 v[40:41], v[72:73], s[10:11], v[40:41]
	v_fma_f64 v[72:73], v[72:73], s[6:7], v[128:129]
	v_add_f64_e64 v[128:129], v[94:95], -v[58:59]
	v_add_f64_e64 v[94:95], v[94:95], -v[92:93]
	;; [unrolled: 1-line block ×3, first 2 shown]
	v_fma_f64 v[199:200], v[22:23], s[10:11], v[199:200]
	v_fma_f64 v[22:23], v[22:23], s[6:7], v[96:97]
	;; [unrolled: 1-line block ×4, first 2 shown]
	v_add_f64_e64 v[4:5], v[4:5], -v[148:149]
	v_add_f64_e64 v[52:53], v[110:111], -v[52:53]
	v_fma_f64 v[110:111], v[140:141], s[0:1], v[28:29]
	v_fma_f64 v[28:29], v[140:141], s[2:3], v[28:29]
	v_add_nc_u32_e32 v201, 0x400, v214
	v_fma_f64 v[112:113], v[76:77], s[12:13], v[112:113]
	v_add_f64_e32 v[98:99], v[205:206], v[98:99]
	v_mul_f64_e32 v[76:77], s[2:3], v[76:77]
	v_add_f64_e32 v[148:149], v[74:75], v[68:69]
	ds_store_2addr_b64 v214, v[122:123], v[191:192] offset1:30
	ds_store_2addr_b64 v214, v[193:194], v[156:157] offset0:60 offset1:90
	ds_store_2addr_b64 v214, v[168:169], v[36:37] offset0:120 offset1:150
	;; [unrolled: 1-line block ×4, first 2 shown]
	ds_store_2addr_b64 v202, v[160:161], v[148:149] offset1:30
	v_fma_f64 v[96:97], v[128:129], s[2:3], v[0:1]
	v_fma_f64 v[0:1], v[128:129], s[0:1], v[0:1]
	;; [unrolled: 1-line block ×8, first 2 shown]
	v_mul_f64_e32 v[136:137], s[12:13], v[16:17]
	v_fma_f64 v[72:73], v[154:155], s[12:13], v[72:73]
	v_fma_f64 v[22:23], v[197:198], s[12:13], v[22:23]
	v_mul_f64_e32 v[36:37], s[2:3], v[106:107]
	v_mul_f64_e32 v[48:49], s[12:13], v[130:131]
	;; [unrolled: 1-line block ×3, first 2 shown]
	v_fma_f64 v[28:29], v[104:105], s[6:7], v[28:29]
	v_add_f64_e64 v[68:69], v[74:75], -v[68:69]
	v_add_f64_e32 v[74:75], v[82:83], v[112:113]
	v_add_f64_e64 v[82:83], v[82:83], -v[112:113]
	v_fma_f64 v[76:77], v[144:145], s[12:13], v[76:77]
	v_add3_u32 v122, 0, v213, v215
	v_add_nc_u32_e32 v123, 0x400, v202
	v_fma_f64 v[96:97], v[92:93], s[6:7], v[96:97]
	v_fma_f64 v[0:1], v[92:93], s[10:11], v[0:1]
	v_mul_f64_e32 v[92:93], s[14:15], v[126:127]
	v_fma_f64 v[152:153], v[128:129], s[6:7], v[152:153]
	v_fma_f64 v[44:45], v[128:129], s[10:11], v[44:45]
	;; [unrolled: 1-line block ×4, first 2 shown]
	v_mul_f64_e32 v[158:159], s[6:7], v[199:200]
	v_mul_f64_e32 v[102:103], s[0:1], v[38:39]
	;; [unrolled: 1-line block ×4, first 2 shown]
	v_add_f64_e64 v[100:101], v[58:59], -v[46:47]
	v_fma_f64 v[136:137], v[30:31], s[0:1], -v[136:137]
	v_mul_f64_e32 v[30:31], s[12:13], v[30:31]
	v_add_f64_e32 v[58:59], v[172:173], v[58:59]
	v_fma_f64 v[36:37], v[209:210], s[12:13], v[36:37]
	v_fma_f64 v[48:49], v[120:121], s[2:3], -v[48:49]
	v_fma_f64 v[62:63], v[138:139], s[10:11], -v[62:63]
	v_add_nc_u32_e32 v120, 0x400, v122
	v_fma_f64 v[96:97], v[170:171], s[12:13], v[96:97]
	v_fma_f64 v[0:1], v[170:171], s[12:13], v[0:1]
	v_fma_f64 v[92:93], v[20:21], s[6:7], -v[92:93]
	v_mul_f64_e32 v[20:21], s[14:15], v[20:21]
	v_fma_f64 v[44:45], v[150:151], s[12:13], v[44:45]
	v_fma_f64 v[128:129], v[124:125], s[10:11], v[128:129]
	;; [unrolled: 1-line block ×8, first 2 shown]
	v_fma_f64 v[146:147], v[72:73], s[0:1], -v[146:147]
	v_fma_f64 v[150:151], v[22:23], s[6:7], -v[154:155]
	v_add_f64_e32 v[18:19], v[94:95], v[100:101]
	v_mul_f64_e32 v[80:81], s[10:11], v[80:81]
	v_fma_f64 v[94:95], v[104:105], s[10:11], v[110:111]
	v_mul_f64_e32 v[66:67], s[2:3], v[66:67]
	v_mul_f64_e32 v[72:73], s[12:13], v[72:73]
	;; [unrolled: 1-line block ×3, first 2 shown]
	v_add_f64_e32 v[112:113], v[6:7], v[136:137]
	v_add_f64_e64 v[6:7], v[6:7], -v[136:137]
	v_fma_f64 v[16:17], v[16:17], s[2:3], -v[30:31]
	v_add_f64_e32 v[30:31], v[58:59], v[46:47]
	v_add_f64_e32 v[4:5], v[32:33], v[92:93]
	v_add_f64_e64 v[32:33], v[32:33], -v[92:93]
	v_mul_f64_e32 v[92:93], s[10:11], v[108:109]
	v_fma_f64 v[20:21], v[126:127], s[10:11], -v[20:21]
	v_fma_f64 v[12:13], v[207:208], s[12:13], v[70:71]
	ds_store_2addr_b64 v202, v[74:75], v[112:113] offset0:60 offset1:90
	ds_store_2addr_b64 v202, v[4:5], v[52:53] offset0:120 offset1:150
	;; [unrolled: 1-line block ×4, first 2 shown]
	v_fma_f64 v[108:109], v[140:141], s[10:11], v[158:159]
	v_fma_f64 v[26:27], v[140:141], s[6:7], v[26:27]
	v_add_f64_e32 v[106:107], v[124:125], v[152:153]
	v_add_f64_e32 v[100:101], v[96:97], v[102:103]
	v_add_f64_e64 v[96:97], v[96:97], -v[102:103]
	v_fma_f64 v[102:103], v[207:208], s[12:13], v[128:129]
	v_fma_f64 v[70:71], v[116:117], s[14:15], v[92:93]
	;; [unrolled: 1-line block ×5, first 2 shown]
	v_fma_f64 v[28:29], v[40:41], s[2:3], -v[72:73]
	v_fma_f64 v[22:23], v[60:61], s[10:11], -v[22:23]
	v_add_f64_e32 v[104:105], v[0:1], v[146:147]
	v_add_f64_e32 v[50:51], v[44:45], v[150:151]
	v_add_f64_e64 v[110:111], v[124:125], -v[152:153]
	v_add_f64_e64 v[0:1], v[0:1], -v[146:147]
	;; [unrolled: 1-line block ×3, first 2 shown]
	v_add_f64_e32 v[60:61], v[78:79], v[24:25]
	v_add_f64_e32 v[66:67], v[34:35], v[54:55]
	;; [unrolled: 1-line block ×3, first 2 shown]
	v_add_f64_e64 v[68:69], v[78:79], -v[24:25]
	v_add_f64_e32 v[82:83], v[42:43], v[62:63]
	v_add_f64_e64 v[72:73], v[34:35], -v[54:55]
	v_add_f64_e64 v[78:79], v[90:91], -v[36:37]
	;; [unrolled: 1-line block ×3, first 2 shown]
	ds_store_2addr_b64 v122, v[56:57], v[106:107] offset1:30
	ds_store_2addr_b64 v122, v[100:101], v[104:105] offset0:60 offset1:90
	ds_store_2addr_b64 v122, v[50:51], v[14:15] offset0:120 offset1:150
	;; [unrolled: 1-line block ×4, first 2 shown]
	v_fma_f64 v[46:47], v[98:99], s[12:13], v[108:109]
	v_fma_f64 v[10:11], v[98:99], s[12:13], v[26:27]
	v_fma_f64 v[26:27], v[199:200], s[14:15], v[80:81]
	v_add_f64_e32 v[80:81], v[64:65], v[48:49]
	v_add_f64_e64 v[64:65], v[64:65], -v[48:49]
	v_add_f64_e32 v[90:91], v[88:89], v[8:9]
	v_add_f64_e64 v[88:89], v[88:89], -v[8:9]
	;; [unrolled: 2-line block ×9, first 2 shown]
	global_wb scope:SCOPE_SE
	s_wait_dscnt 0x0
	s_barrier_signal -1
	s_barrier_wait -1
	global_inv scope:SCOPE_SE
	v_add_f64_e32 v[114:115], v[10:11], v[22:23]
	v_add_f64_e32 v[104:105], v[46:47], v[26:27]
	v_add_f64_e64 v[106:107], v[46:47], -v[26:27]
	v_add_f64_e64 v[118:119], v[10:11], -v[22:23]
	ds_load_2addr_b64 v[0:3], v165 offset1:100
	ds_load_2addr_b64 v[4:7], v174 offset0:72 offset1:172
	ds_load_2addr_b64 v[12:15], v184 offset0:88 offset1:188
	;; [unrolled: 1-line block ×14, first 2 shown]
	global_wb scope:SCOPE_SE
	s_wait_dscnt 0x0
	s_barrier_signal -1
	s_barrier_wait -1
	global_inv scope:SCOPE_SE
	ds_store_2addr_b64 v214, v[60:61], v[66:67] offset1:30
	ds_store_2addr_b64 v214, v[74:75], v[80:81] offset0:60 offset1:90
	ds_store_2addr_b64 v214, v[82:83], v[68:69] offset0:120 offset1:150
	ds_store_2addr_b64 v214, v[72:73], v[78:79] offset0:180 offset1:210
	ds_store_2addr_b64 v201, v[64:65], v[62:63] offset0:112 offset1:142
	ds_store_2addr_b64 v202, v[90:91], v[92:93] offset1:30
	ds_store_2addr_b64 v202, v[94:95], v[86:87] offset0:60 offset1:90
	ds_store_2addr_b64 v202, v[96:97], v[88:89] offset0:120 offset1:150
	ds_store_2addr_b64 v202, v[70:71], v[76:77] offset0:180 offset1:210
	ds_store_2addr_b64 v123, v[84:85], v[98:99] offset0:112 offset1:142
	;; [unrolled: 5-line block ×3, first 2 shown]
	global_wb scope:SCOPE_SE
	s_wait_dscnt 0x0
	s_barrier_signal -1
	s_barrier_wait -1
	global_inv scope:SCOPE_SE
	s_and_saveexec_b32 s16, vcc_lo
	s_cbranch_execz .LBB0_13
; %bb.12:
	v_mul_u32_u24_e32 v60, 9, v180
	v_mul_u32_u24_e32 v61, 9, v164
	v_mad_u32_u24 v168, v180, 9, 0xfffffc7c
	s_delay_alu instid0(VALU_DEP_3) | instskip(NEXT) | instid1(VALU_DEP_3)
	v_dual_mov_b32 v169, 0 :: v_dual_lshlrev_b32 v60, 4, v60
	v_lshlrev_b32_e32 v70, 4, v61
	s_delay_alu instid0(VALU_DEP_2)
	v_lshlrev_b64_e32 v[68:69], 4, v[168:169]
	v_mul_hi_u32 v168, 0x1b4e81b5, v180
	s_clause 0xf
	global_load_b128 v[189:192], v60, s[4:5] offset:4656
	global_load_b128 v[160:163], v70, s[4:5] offset:4672
	;; [unrolled: 1-line block ×16, first 2 shown]
	v_add_co_u32 v72, vcc_lo, s4, v68
	s_wait_alu 0xfffd
	v_add_co_ci_u32_e32 v73, vcc_lo, s5, v69, vcc_lo
	v_lshrrev_b32_e32 v168, 5, v168
	v_add_co_u32 v235, vcc_lo, s8, v166
	s_clause 0xa
	global_load_b128 v[112:115], v70, s[4:5] offset:4736
	global_load_b128 v[108:111], v70, s[4:5] offset:4640
	global_load_b128 v[100:103], v[72:73], off offset:4688
	global_load_b128 v[96:99], v[72:73], off offset:4720
	;; [unrolled: 1-line block ×9, first 2 shown]
	ds_load_2addr_b64 v[170:173], v187 offset0:32 offset1:132
	ds_load_2addr_b64 v[193:196], v186 offset0:48 offset1:148
	;; [unrolled: 1-line block ×3, first 2 shown]
	v_mul_u32_u24_e32 v168, 0xa8c, v168
	s_wait_alu 0xfffd
	v_add_co_ci_u32_e32 v236, vcc_lo, s9, v167, vcc_lo
	s_wait_loadcnt_dscnt 0x1902
	v_mul_f64_e32 v[213:214], v[162:163], v[172:173]
	v_mul_f64_e32 v[215:216], v[160:161], v[172:173]
	s_wait_loadcnt_dscnt 0x1801
	v_mul_f64_e32 v[217:218], v[156:157], v[193:194]
	v_mul_f64_e32 v[193:194], v[158:159], v[193:194]
	;; [unrolled: 3-line block ×3, first 2 shown]
	v_mul_f64_e32 v[209:210], v[189:190], v[170:171]
	v_mul_f64_e32 v[211:212], v[191:192], v[170:171]
	ds_load_2addr_b64 v[170:173], v184 offset0:88 offset1:188
	ds_load_2addr_b64 v[201:204], v183 offset0:96 offset1:196
	;; [unrolled: 1-line block ×5, first 2 shown]
	s_wait_loadcnt_dscnt 0x1503
	v_mul_f64_e32 v[225:226], v[144:145], v[201:202]
	v_mul_f64_e32 v[221:222], v[148:149], v[170:171]
	;; [unrolled: 1-line block ×4, first 2 shown]
	s_wait_loadcnt_dscnt 0x1402
	v_mul_f64_e32 v[227:228], v[140:141], v[205:206]
	v_mul_f64_e32 v[205:206], v[142:143], v[205:206]
	s_wait_loadcnt_dscnt 0x1200
	v_mul_f64_e32 v[231:232], v[132:133], v[185:186]
	v_fma_f64 v[160:161], v[58:59], v[160:161], -v[213:214]
	v_fma_f64 v[162:163], v[58:59], v[162:163], v[215:216]
	ds_load_2addr_b64 v[213:216], v178 offset0:64 offset1:164
	v_mul_f64_e32 v[185:186], v[134:135], v[185:186]
	v_mul_f64_e32 v[229:230], v[136:137], v[181:182]
	;; [unrolled: 1-line block ×3, first 2 shown]
	v_fma_f64 v[156:157], v[36:37], v[156:157], -v[193:194]
	v_fma_f64 v[58:59], v[40:41], v[152:153], -v[197:198]
	v_fma_f64 v[158:159], v[36:37], v[158:159], v[217:218]
	v_fma_f64 v[170:171], v[56:57], v[191:192], v[209:210]
	v_fma_f64 v[56:57], v[56:57], v[189:190], -v[211:212]
	ds_load_2addr_b64 v[189:192], v177 offset0:104 offset1:204
	ds_load_2addr_b64 v[209:212], v179 offset0:112 offset1:212
	v_fma_f64 v[154:155], v[40:41], v[154:155], v[219:220]
	v_fma_f64 v[36:37], v[32:33], v[146:147], v[225:226]
	;; [unrolled: 1-line block ×3, first 2 shown]
	v_fma_f64 v[148:149], v[12:13], v[148:149], -v[223:224]
	s_wait_loadcnt_dscnt 0x1101
	v_mul_f64_e32 v[152:153], v[130:131], v[191:192]
	v_mul_f64_e32 v[177:178], v[128:129], v[191:192]
	v_fma_f64 v[12:13], v[32:33], v[144:145], -v[201:202]
	s_wait_loadcnt_dscnt 0x1000
	v_mul_f64_e32 v[191:192], v[126:127], v[211:212]
	v_mul_f64_e32 v[193:194], v[124:125], v[211:212]
	v_fma_f64 v[201:202], v[44:45], v[140:141], -v[205:206]
	s_wait_loadcnt 0xf
	v_mul_f64_e32 v[205:206], v[122:123], v[215:216]
	v_mul_f64_e32 v[211:212], v[120:121], v[215:216]
	v_fma_f64 v[197:198], v[44:45], v[142:143], v[227:228]
	ds_load_2addr_b64 v[140:143], v175 offset0:152 offset1:252
	v_fma_f64 v[40:41], v[52:53], v[134:135], v[231:232]
	v_fma_f64 v[32:33], v[52:53], v[132:133], -v[185:186]
	ds_load_2addr_b64 v[132:135], v176 offset0:144 offset1:244
	ds_load_2addr_b64 v[144:147], v174 offset0:72 offset1:172
	v_fma_f64 v[138:139], v[48:49], v[138:139], v[229:230]
	v_fma_f64 v[44:45], v[48:49], v[136:137], -v[181:182]
	s_wait_loadcnt 0xb
	v_mul_f64_e32 v[136:137], v[104:105], v[187:188]
	s_wait_loadcnt 0x8
	v_mul_f64_e32 v[181:182], v[102:103], v[195:196]
	;; [unrolled: 2-line block ×3, first 2 shown]
	s_wait_dscnt 0x0
	v_mul_f64_e32 v[174:175], v[110:111], v[146:147]
	v_mul_f64_e32 v[146:147], v[108:109], v[146:147]
	v_add_f64_e32 v[215:216], v[0:1], v[148:149]
	v_fma_f64 v[48:49], v[26:27], v[128:129], -v[152:153]
	v_fma_f64 v[52:53], v[26:27], v[130:131], v[177:178]
	v_mul_f64_e32 v[128:129], v[118:119], v[142:143]
	v_mul_f64_e32 v[130:131], v[62:63], v[134:135]
	v_fma_f64 v[26:27], v[30:31], v[124:125], -v[191:192]
	v_fma_f64 v[30:31], v[30:31], v[126:127], v[193:194]
	v_mul_f64_e32 v[124:125], v[116:117], v[142:143]
	v_mul_f64_e32 v[126:127], v[60:61], v[134:135]
	v_fma_f64 v[120:121], v[18:19], v[120:121], -v[205:206]
	v_fma_f64 v[18:19], v[18:19], v[122:123], v[211:212]
	v_mul_f64_e32 v[122:123], v[66:67], v[207:208]
	v_mul_f64_e32 v[134:135], v[106:107], v[187:188]
	v_mul_f64_e32 v[142:143], v[114:115], v[183:184]
	v_mul_f64_e32 v[152:153], v[64:65], v[207:208]
	;; [unrolled: 1-line block ×5, first 2 shown]
	s_wait_loadcnt 0x6
	v_mul_f64_e32 v[187:188], v[92:93], v[172:173]
	v_mul_f64_e32 v[172:173], v[94:95], v[172:173]
	s_wait_loadcnt 0x5
	v_mul_f64_e32 v[191:192], v[88:89], v[203:204]
	v_mul_f64_e32 v[193:194], v[90:91], v[203:204]
	;; [unrolled: 3-line block ×7, first 2 shown]
	v_add_f64_e64 v[166:167], v[44:45], -v[32:33]
	v_fma_f64 v[108:109], v[6:7], v[108:109], -v[174:175]
	v_fma_f64 v[6:7], v[6:7], v[110:111], v[146:147]
	v_add_f64_e32 v[110:111], v[158:159], v[154:155]
	v_add_f64_e64 v[146:147], v[32:33], -v[44:45]
	v_add_f64_e32 v[174:175], v[4:5], v[56:57]
	v_add_f64_e64 v[213:214], v[12:13], -v[58:59]
	v_add_f64_e64 v[225:226], v[156:157], -v[148:149]
	;; [unrolled: 1-line block ×3, first 2 shown]
	v_fma_f64 v[128:129], v[22:23], v[116:117], -v[128:129]
	v_fma_f64 v[60:61], v[10:11], v[60:61], -v[130:131]
	v_add_f64_e32 v[130:131], v[148:149], v[12:13]
	v_add_f64_e32 v[221:222], v[52:53], v[30:31]
	v_fma_f64 v[22:23], v[22:23], v[118:119], v[124:125]
	v_fma_f64 v[10:11], v[10:11], v[62:63], v[126:127]
	ds_load_2addr_b64 v[116:119], v165 offset1:100
	v_mov_b32_e32 v165, v169
	v_fma_f64 v[62:63], v[46:47], v[64:65], -v[122:123]
	v_fma_f64 v[64:65], v[54:55], v[104:105], -v[134:135]
	;; [unrolled: 1-line block ×3, first 2 shown]
	v_fma_f64 v[46:47], v[46:47], v[66:67], v[152:153]
	v_lshlrev_b64_e32 v[124:125], 4, v[164:165]
	v_fma_f64 v[66:67], v[38:39], v[102:103], v[178:179]
	v_fma_f64 v[38:39], v[38:39], v[100:101], -v[181:182]
	v_fma_f64 v[98:99], v[42:43], v[98:99], v[183:184]
	v_fma_f64 v[42:43], v[42:43], v[96:97], -v[185:186]
	;; [unrolled: 2-line block ×4, first 2 shown]
	v_lshlrev_b64_e32 v[164:165], 4, v[168:169]
	v_fma_f64 v[54:55], v[54:55], v[106:107], v[136:137]
	v_fma_f64 v[50:51], v[50:51], v[114:115], v[176:177]
	v_fma_f64 v[68:69], v[24:25], v[68:69], -v[195:196]
	v_fma_f64 v[80:81], v[16:17], v[80:81], -v[205:206]
	;; [unrolled: 1-line block ×5, first 2 shown]
	v_fma_f64 v[24:25], v[24:25], v[70:71], v[189:190]
	v_fma_f64 v[28:29], v[28:29], v[86:87], v[203:204]
	;; [unrolled: 1-line block ×5, first 2 shown]
	v_add_f64_e32 v[96:97], v[201:202], v[44:45]
	v_add_f64_e32 v[100:101], v[56:57], v[32:33]
	;; [unrolled: 1-line block ×3, first 2 shown]
	v_add_f64_e64 v[122:123], v[120:121], -v[48:49]
	v_add_f64_e32 v[126:127], v[156:157], v[58:59]
	v_add_f64_e64 v[132:133], v[128:129], -v[26:27]
	v_add_f64_e64 v[134:135], v[18:19], -v[52:53]
	;; [unrolled: 1-line block ×5, first 2 shown]
	v_add_f64_e32 v[78:79], v[197:198], v[138:139]
	v_add_f64_e32 v[86:87], v[170:171], v[40:41]
	v_add_f64_e64 v[92:93], v[52:53], -v[18:19]
	v_add_f64_e64 v[102:103], v[30:31], -v[22:23]
	;; [unrolled: 1-line block ×7, first 2 shown]
	v_add_f64_e32 v[168:169], v[66:67], v[98:99]
	v_add_f64_e32 v[182:183], v[38:39], v[42:43]
	v_add_f64_e64 v[186:187], v[64:65], -v[104:105]
	v_add_f64_e64 v[70:71], v[170:171], -v[197:198]
	v_add_f64_e32 v[172:173], v[94:95], v[90:91]
	v_add_f64_e32 v[184:185], v[14:15], v[34:35]
	v_add_f64_e64 v[74:75], v[40:41], -v[138:139]
	v_add_f64_e64 v[188:189], v[162:163], -v[46:47]
	;; [unrolled: 1-line block ×9, first 2 shown]
	s_wait_dscnt 0x0
	v_add_f64_e32 v[209:210], v[150:151], v[116:117]
	v_add_f64_e64 v[211:212], v[148:149], -v[156:157]
	v_add_f64_e32 v[219:220], v[18:19], v[22:23]
	v_add_f64_e32 v[231:232], v[46:47], v[50:51]
	v_fma_f64 v[96:97], v[96:97], -0.5, v[4:5]
	v_fma_f64 v[4:5], v[100:101], -0.5, v[4:5]
	v_add_f64_e32 v[100:101], v[162:163], v[54:55]
	v_fma_f64 v[110:111], v[110:111], -0.5, v[116:117]
	v_fma_f64 v[112:113], v[112:113], -0.5, v[116:117]
	v_fma_f64 v[126:127], v[126:127], -0.5, v[0:1]
	v_fma_f64 v[0:1], v[130:131], -0.5, v[0:1]
	v_add_f64_e32 v[122:123], v[122:123], v[132:133]
	v_add_f64_e64 v[132:133], v[68:69], -v[80:81]
	v_add_f64_e32 v[134:135], v[134:135], v[136:137]
	v_add_f64_e64 v[136:137], v[84:85], -v[76:77]
	;; [unrolled: 2-line block ×4, first 2 shown]
	v_add_f64_e64 v[82:83], v[48:49], -v[120:121]
	v_add_f64_e64 v[88:89], v[26:27], -v[128:129]
	v_add_f64_e32 v[140:141], v[170:171], v[144:145]
	v_add_f64_e32 v[217:218], v[120:121], v[128:129]
	v_fma_f64 v[116:117], v[168:169], -0.5, v[118:119]
	v_fma_f64 v[130:131], v[182:183], -0.5, v[2:3]
	v_add_f64_e32 v[223:224], v[48:49], v[26:27]
	v_add_f64_e32 v[229:230], v[52:53], v[10:11]
	v_fma_f64 v[168:169], v[172:173], -0.5, v[118:119]
	v_add_f64_e32 v[172:173], v[62:63], v[104:105]
	v_fma_f64 v[182:183], v[184:185], -0.5, v[2:3]
	v_add_f64_e32 v[184:185], v[160:161], v[64:65]
	v_fma_f64 v[78:79], v[78:79], -0.5, v[144:145]
	v_fma_f64 v[86:87], v[86:87], -0.5, v[144:145]
	v_add_f64_e32 v[144:145], v[48:49], v[60:61]
	v_add_f64_e32 v[92:93], v[92:93], v[102:103]
	v_add_f64_e64 v[102:103], v[94:95], -v[66:67]
	v_add_f64_e32 v[106:107], v[106:107], v[114:115]
	v_add_f64_e64 v[114:115], v[90:91], -v[98:99]
	v_add_f64_e32 v[176:177], v[176:177], v[178:179]
	v_add_f64_e32 v[178:179], v[162:163], v[6:7]
	;; [unrolled: 1-line block ×7, first 2 shown]
	v_add_f64_e64 v[74:75], v[201:202], -v[44:45]
	v_add_f64_e32 v[188:189], v[188:189], v[190:191]
	v_add_f64_e64 v[190:191], v[66:67], -v[94:95]
	v_add_f64_e32 v[192:193], v[192:193], v[194:195]
	;; [unrolled: 2-line block ×5, first 2 shown]
	v_add_f64_e64 v[213:214], v[16:17], -v[24:25]
	v_fma_f64 v[219:220], v[219:220], -0.5, v[10:11]
	v_fma_f64 v[10:11], v[221:222], -0.5, v[10:11]
	v_add_f64_e64 v[221:222], v[20:21], -v[28:29]
	v_add_f64_e32 v[174:175], v[174:175], v[201:202]
	v_add_f64_e32 v[201:202], v[16:17], v[20:21]
	v_fma_f64 v[231:232], v[231:232], -0.5, v[6:7]
	v_fma_f64 v[6:7], v[100:101], -0.5, v[6:7]
	v_add_f64_e32 v[100:101], v[24:25], v[28:29]
	v_add_f64_e32 v[132:133], v[132:133], v[136:137]
	v_add_f64_e32 v[136:137], v[24:25], v[8:9]
	v_fma_f64 v[172:173], v[172:173], -0.5, v[108:109]
	v_add_f64_e32 v[146:147], v[146:147], v[166:167]
	v_fma_f64 v[108:109], v[184:185], -0.5, v[108:109]
	v_add_f64_e32 v[184:185], v[80:81], v[76:77]
	v_add_f64_e32 v[166:167], v[68:69], v[72:73]
	v_add_f64_e32 v[82:83], v[82:83], v[88:89]
	v_add_f64_e64 v[88:89], v[18:19], -v[22:23]
	v_fma_f64 v[217:218], v[217:218], -0.5, v[60:61]
	v_fma_f64 v[60:61], v[223:224], -0.5, v[60:61]
	v_add_f64_e64 v[223:224], v[14:15], -v[38:39]
	v_add_f64_e32 v[225:226], v[225:226], v[227:228]
	v_add_f64_e64 v[227:228], v[34:35], -v[42:43]
	v_add_f64_e32 v[18:19], v[18:19], v[229:230]
	v_add_f64_e32 v[102:103], v[102:103], v[114:115]
	;; [unrolled: 1-line block ×4, first 2 shown]
	v_add_f64_e64 v[120:121], v[120:121], -v[128:129]
	v_add_f64_e32 v[140:141], v[197:198], v[140:141]
	v_add_f64_e32 v[209:210], v[158:159], v[209:210]
	v_add_f64_e64 v[48:49], v[48:49], -v[26:27]
	v_add_f64_e32 v[178:179], v[46:47], v[178:179]
	v_add_f64_e64 v[52:53], v[52:53], -v[30:31]
	v_add_f64_e64 v[46:47], v[46:47], -v[50:51]
	v_add_f64_e32 v[215:216], v[215:216], v[156:157]
	v_add_f64_e64 v[156:157], v[156:157], -v[58:59]
	v_add_f64_e32 v[186:187], v[62:63], v[186:187]
	v_add_f64_e64 v[62:63], v[62:63], -v[104:105]
	v_add_f64_e64 v[160:161], v[160:161], -v[64:65]
	;; [unrolled: 1-line block ×7, first 2 shown]
	v_add_f64_e32 v[190:191], v[190:191], v[194:195]
	v_add_f64_e64 v[194:195], v[66:67], -v[98:99]
	v_add_f64_e32 v[203:204], v[203:204], v[207:208]
	v_add_f64_e64 v[207:208], v[16:17], -v[20:21]
	;; [unrolled: 2-line block ×3, first 2 shown]
	v_add_f64_e64 v[24:25], v[24:25], -v[28:29]
	v_add_f64_e64 v[68:69], v[68:69], -v[84:85]
	v_fma_f64 v[201:202], v[201:202], -0.5, v[8:9]
	v_fma_f64 v[8:9], v[100:101], -0.5, v[8:9]
	;; [unrolled: 1-line block ×3, first 2 shown]
	v_add_f64_e32 v[66:67], v[66:67], v[118:119]
	v_add_f64_e32 v[16:17], v[16:17], v[136:137]
	;; [unrolled: 1-line block ×4, first 2 shown]
	v_fma_f64 v[118:119], v[74:75], s[2:3], v[86:87]
	v_fma_f64 v[86:87], v[74:75], s[0:1], v[86:87]
	v_add_f64_e32 v[223:224], v[223:224], v[227:228]
	v_add_f64_e64 v[227:228], v[80:81], -v[76:77]
	v_fma_f64 v[72:73], v[114:115], -0.5, v[72:73]
	v_add_f64_e32 v[18:19], v[22:23], v[18:19]
	v_add_f64_e32 v[22:23], v[174:175], v[44:45]
	;; [unrolled: 1-line block ×3, first 2 shown]
	v_fma_f64 v[128:129], v[120:121], s[2:3], v[10:11]
	v_fma_f64 v[10:11], v[120:121], s[0:1], v[10:11]
	v_add_f64_e64 v[229:230], v[42:43], -v[34:35]
	v_add_f64_e64 v[170:171], v[170:171], -v[40:41]
	;; [unrolled: 1-line block ×4, first 2 shown]
	v_add_f64_e32 v[80:81], v[138:139], v[140:141]
	v_add_f64_e32 v[114:115], v[154:155], v[209:210]
	;; [unrolled: 1-line block ×4, first 2 shown]
	v_fma_f64 v[136:137], v[88:89], s[0:1], v[60:61]
	v_fma_f64 v[60:61], v[88:89], s[2:3], v[60:61]
	;; [unrolled: 1-line block ×16, first 2 shown]
	v_add_f64_e64 v[150:151], v[150:151], -v[36:37]
	v_fma_f64 v[138:139], v[56:57], s[0:1], v[78:79]
	v_fma_f64 v[78:79], v[56:57], s[2:3], v[78:79]
	v_add_f64_e32 v[66:67], v[98:99], v[66:67]
	v_fma_f64 v[98:99], v[158:159], s[0:1], v[0:1]
	v_fma_f64 v[0:1], v[158:159], s[2:3], v[0:1]
	v_add_f64_e32 v[16:17], v[20:21], v[16:17]
	v_add_f64_e32 v[20:21], v[76:77], v[38:39]
	v_fma_f64 v[76:77], v[68:69], s[2:3], v[201:202]
	v_fma_f64 v[118:119], v[56:57], s[6:7], v[118:119]
	;; [unrolled: 1-line block ×4, first 2 shown]
	v_add_f64_e32 v[2:3], v[2:3], v[42:43]
	v_fma_f64 v[42:43], v[207:208], s[2:3], v[72:73]
	v_fma_f64 v[128:129], v[48:49], s[6:7], v[128:129]
	;; [unrolled: 1-line block ×8, first 2 shown]
	v_add_f64_e64 v[94:95], v[94:95], -v[90:91]
	v_add_f64_e32 v[196:197], v[196:197], v[229:230]
	v_add_f64_e32 v[50:51], v[50:51], v[178:179]
	v_fma_f64 v[174:175], v[233:234], s[0:1], v[4:5]
	v_fma_f64 v[4:5], v[233:234], s[2:3], v[4:5]
	;; [unrolled: 1-line block ×12, first 2 shown]
	v_add_f64_e32 v[22:23], v[32:33], v[22:23]
	v_add_f64_e32 v[26:27], v[26:27], v[44:45]
	v_fma_f64 v[32:33], v[148:149], s[6:7], v[184:185]
	v_fma_f64 v[44:45], v[148:149], s[10:11], v[112:113]
	;; [unrolled: 1-line block ×12, first 2 shown]
	v_add_f64_e32 v[36:37], v[36:37], v[114:115]
	v_fma_f64 v[114:115], v[150:151], s[6:7], v[0:1]
	v_add_f64_e32 v[12:13], v[12:13], v[58:59]
	v_fma_f64 v[0:1], v[207:208], s[6:7], v[86:87]
	v_fma_f64 v[58:59], v[227:228], s[10:11], v[76:77]
	;; [unrolled: 1-line block ×16, first 2 shown]
	v_add_f64_e32 v[40:41], v[40:41], v[80:81]
	v_add_f64_e32 v[18:19], v[30:31], v[18:19]
	v_fma_f64 v[30:31], v[170:171], s[10:11], v[174:175]
	v_fma_f64 v[4:5], v[170:171], s[6:7], v[4:5]
	;; [unrolled: 1-line block ×9, first 2 shown]
	v_add_f64_e32 v[66:67], v[90:91], v[66:67]
	v_fma_f64 v[108:109], v[199:200], s[12:13], v[108:109]
	v_fma_f64 v[116:117], v[180:181], s[12:13], v[160:161]
	;; [unrolled: 1-line block ×14, first 2 shown]
	v_add_f64_e32 v[50:51], v[54:55], v[50:51]
	v_fma_f64 v[54:55], v[158:159], s[10:11], v[231:232]
	v_fma_f64 v[46:47], v[180:181], s[12:13], v[46:47]
	;; [unrolled: 1-line block ×8, first 2 shown]
	v_add_f64_e32 v[64:65], v[64:65], v[104:105]
	v_fma_f64 v[104:105], v[188:189], s[12:13], v[148:149]
	v_fma_f64 v[166:167], v[156:157], s[6:7], v[229:230]
	v_fma_f64 v[68:69], v[146:147], s[12:13], v[68:69]
	v_fma_f64 v[72:73], v[132:133], s[12:13], v[72:73]
	v_fma_f64 v[110:111], v[156:157], s[10:11], v[110:111]
	v_add_f64_e32 v[20:21], v[84:85], v[20:21]
	v_fma_f64 v[84:85], v[70:71], s[12:13], v[138:139]
	v_fma_f64 v[132:133], v[134:135], s[12:13], v[10:11]
	v_fma_f64 v[134:135], v[70:71], s[12:13], v[74:75]
	v_fma_f64 v[70:71], v[92:93], s[12:13], v[120:121]
	v_fma_f64 v[126:127], v[158:159], s[6:7], v[126:127]
	;; [unrolled: 6-line block ×3, first 2 shown]
	v_mul_f64_e32 v[74:75], s[12:13], v[100:101]
	v_mul_f64_e32 v[80:81], s[2:3], v[52:53]
	;; [unrolled: 1-line block ×3, first 2 shown]
	v_fma_f64 v[142:143], v[142:143], s[12:13], v[96:97]
	v_mul_f64_e32 v[96:97], s[2:3], v[108:109]
	v_mul_f64_e32 v[144:145], s[10:11], v[116:117]
	;; [unrolled: 1-line block ×3, first 2 shown]
	v_fma_f64 v[38:39], v[221:222], s[6:7], v[38:39]
	v_fma_f64 v[130:131], v[194:195], s[6:7], v[130:131]
	v_mul_f64_e32 v[30:31], s[14:15], v[90:91]
	v_add_f64_e64 v[0:1], v[22:23], -v[26:27]
	v_mul_f64_e32 v[148:149], s[12:13], v[128:129]
	v_add_f64_e32 v[4:5], v[22:23], v[26:27]
	v_mul_f64_e32 v[22:23], s[10:11], v[106:107]
	v_mul_f64_e32 v[26:27], s[6:7], v[58:59]
	v_fma_f64 v[98:99], v[150:151], s[10:11], v[98:99]
	v_mul_f64_e32 v[150:151], s[0:1], v[140:141]
	v_fma_f64 v[94:95], v[94:95], s[6:7], v[182:183]
	;; [unrolled: 2-line block ×3, first 2 shown]
	v_mul_f64_e32 v[54:55], s[2:3], v[42:43]
	v_mul_f64_e32 v[158:159], s[0:1], v[48:49]
	v_add_f64_e32 v[34:35], v[34:35], v[2:3]
	v_add_f64_e64 v[2:3], v[40:41], -v[18:19]
	v_add_f64_e32 v[6:7], v[40:41], v[18:19]
	v_mul_f64_e32 v[40:41], s[12:13], v[112:113]
	v_mul_f64_e32 v[160:161], s[12:13], v[122:123]
	;; [unrolled: 1-line block ×4, first 2 shown]
	v_fma_f64 v[154:155], v[176:177], s[12:13], v[166:167]
	v_mul_f64_e32 v[166:167], s[14:15], v[68:69]
	v_mul_f64_e32 v[168:169], s[14:15], v[72:73]
	v_fma_f64 v[110:111], v[176:177], s[12:13], v[110:111]
	v_mul_f64_e32 v[176:177], s[6:7], v[70:71]
	v_mul_f64_e32 v[174:175], s[0:1], v[132:133]
	;; [unrolled: 1-line block ×4, first 2 shown]
	v_fma_f64 v[126:127], v[211:212], s[12:13], v[126:127]
	v_fma_f64 v[74:75], v[118:119], s[2:3], -v[74:75]
	v_fma_f64 v[80:81], v[132:133], s[12:13], v[80:81]
	v_fma_f64 v[118:119], v[70:71], s[14:15], v[92:93]
	v_add_f64_e64 v[10:11], v[36:37], -v[50:51]
	v_fma_f64 v[92:93], v[140:141], s[12:13], v[96:97]
	v_fma_f64 v[96:97], v[62:63], s[14:15], v[144:145]
	;; [unrolled: 1-line block ×5, first 2 shown]
	v_fma_f64 v[178:179], v[14:15], s[10:11], -v[30:31]
	v_add_f64_e32 v[14:15], v[36:37], v[50:51]
	v_fma_f64 v[36:37], v[102:103], s[12:13], v[38:39]
	v_fma_f64 v[112:113], v[112:113], s[0:1], -v[148:149]
	v_fma_f64 v[102:103], v[102:103], s[12:13], v[86:87]
	v_fma_f64 v[148:149], v[58:59], s[14:15], v[22:23]
	;; [unrolled: 1-line block ×5, first 2 shown]
	v_fma_f64 v[104:105], v[104:105], s[6:7], -v[146:147]
	v_fma_f64 v[132:133], v[190:191], s[12:13], v[76:77]
	v_fma_f64 v[146:147], v[196:197], s[12:13], v[94:95]
	;; [unrolled: 1-line block ×6, first 2 shown]
	v_fma_f64 v[40:41], v[128:129], s[2:3], -v[40:41]
	v_fma_f64 v[128:129], v[190:191], s[12:13], v[60:61]
	v_fma_f64 v[144:145], v[196:197], s[12:13], v[78:79]
	v_fma_f64 v[24:25], v[24:25], s[2:3], -v[160:161]
	v_fma_f64 v[122:123], v[122:123], s[0:1], -v[162:163]
	;; [unrolled: 1-line block ×3, first 2 shown]
	v_fma_f64 v[140:141], v[223:224], s[12:13], v[16:17]
	v_fma_f64 v[152:153], v[72:73], s[10:11], -v[166:167]
	v_fma_f64 v[158:159], v[68:69], s[6:7], -v[168:169]
	v_fma_f64 v[166:167], v[88:89], s[14:15], v[176:177]
	v_fma_f64 v[162:163], v[52:53], s[12:13], v[174:175]
	v_fma_f64 v[160:161], v[100:101], s[0:1], -v[172:173]
	v_add_f64_e64 v[18:19], v[66:67], -v[28:29]
	v_add_f64_e32 v[22:23], v[66:67], v[28:29]
	v_fma_f64 v[28:29], v[90:91], s[6:7], -v[170:171]
	v_add_f64_e64 v[8:9], v[12:13], -v[64:65]
	v_add_f64_e32 v[12:13], v[12:13], v[64:65]
	v_add_f64_e64 v[16:17], v[34:35], -v[20:21]
	v_add_f64_e32 v[20:21], v[34:35], v[20:21]
	v_add_f64_e64 v[30:31], v[82:83], -v[74:75]
	v_add_f64_e64 v[34:35], v[56:57], -v[80:81]
	v_add_f64_e32 v[46:47], v[82:83], v[74:75]
	v_add_f64_e32 v[50:51], v[56:57], v[80:81]
	;; [unrolled: 1-line block ×4, first 2 shown]
	v_add_f64_e64 v[26:27], v[84:85], -v[178:179]
	v_add_f64_e32 v[42:43], v[84:85], v[178:179]
	v_add_f64_e32 v[86:87], v[102:103], v[148:149]
	;; [unrolled: 1-line block ×5, first 2 shown]
	v_add_f64_e64 v[62:63], v[44:45], -v[92:93]
	v_add_f64_e32 v[68:69], v[156:157], v[104:105]
	v_add_f64_e64 v[66:67], v[110:111], -v[96:97]
	v_add_f64_e32 v[90:91], v[132:133], v[48:49]
	v_add_f64_e32 v[88:89], v[146:147], v[150:151]
	v_add_f64_e64 v[64:65], v[126:127], -v[116:117]
	v_add_f64_e32 v[72:73], v[98:99], v[112:113]
	v_add_f64_e32 v[74:75], v[32:33], v[40:41]
	v_add_f64_e64 v[56:57], v[98:99], -v[112:113]
	v_add_f64_e64 v[102:103], v[102:103], -v[148:149]
	v_add_f64_e32 v[94:95], v[128:129], v[24:25]
	v_add_f64_e32 v[92:93], v[144:145], v[122:123]
	v_add_f64_e64 v[54:55], v[154:155], -v[70:71]
	v_add_f64_e32 v[70:71], v[154:155], v[70:71]
	v_add_f64_e32 v[98:99], v[36:37], v[152:153]
	;; [unrolled: 1-line block ×3, first 2 shown]
	v_add_f64_e64 v[100:101], v[130:131], -v[106:107]
	v_add_f64_e64 v[60:61], v[114:115], -v[108:109]
	;; [unrolled: 1-line block ×11, first 2 shown]
	v_add_f64_e32 v[118:119], v[134:135], v[118:119]
	v_add_f64_e32 v[116:117], v[142:143], v[166:167]
	;; [unrolled: 1-line block ×5, first 2 shown]
	v_add_f64_e64 v[36:37], v[142:143], -v[166:167]
	v_add_f64_e64 v[32:33], v[138:139], -v[162:163]
	;; [unrolled: 1-line block ×4, first 2 shown]
	v_add_co_u32 v120, vcc_lo, v235, v124
	s_wait_alu 0xfffd
	v_add_co_ci_u32_e32 v121, vcc_lo, v236, v125, vcc_lo
	s_delay_alu instid0(VALU_DEP_2) | instskip(SKIP_1) | instid1(VALU_DEP_2)
	v_add_co_u32 v122, vcc_lo, v120, v164
	s_wait_alu 0xfffd
	v_add_co_ci_u32_e32 v123, vcc_lo, v121, v165, vcc_lo
	s_clause 0x1d
	global_store_b128 v[120:121], v[12:15], off
	global_store_b128 v[120:121], v[20:23], off offset:1600
	global_store_b128 v[120:121], v[8:11], off offset:24000
	;; [unrolled: 1-line block ×29, first 2 shown]
.LBB0_13:
	s_nop 0
	s_sendmsg sendmsg(MSG_DEALLOC_VGPRS)
	s_endpgm
	.section	.rodata,"a",@progbits
	.p2align	6, 0x0
	.amdhsa_kernel fft_rtc_fwd_len3000_factors_10_3_10_10_wgs_100_tpt_100_halfLds_dp_ip_CI_unitstride_sbrr_dirReg
		.amdhsa_group_segment_fixed_size 0
		.amdhsa_private_segment_fixed_size 0
		.amdhsa_kernarg_size 88
		.amdhsa_user_sgpr_count 2
		.amdhsa_user_sgpr_dispatch_ptr 0
		.amdhsa_user_sgpr_queue_ptr 0
		.amdhsa_user_sgpr_kernarg_segment_ptr 1
		.amdhsa_user_sgpr_dispatch_id 0
		.amdhsa_user_sgpr_private_segment_size 0
		.amdhsa_wavefront_size32 1
		.amdhsa_uses_dynamic_stack 0
		.amdhsa_enable_private_segment 0
		.amdhsa_system_sgpr_workgroup_id_x 1
		.amdhsa_system_sgpr_workgroup_id_y 0
		.amdhsa_system_sgpr_workgroup_id_z 0
		.amdhsa_system_sgpr_workgroup_info 0
		.amdhsa_system_vgpr_workitem_id 0
		.amdhsa_next_free_vgpr 237
		.amdhsa_next_free_sgpr 32
		.amdhsa_reserve_vcc 1
		.amdhsa_float_round_mode_32 0
		.amdhsa_float_round_mode_16_64 0
		.amdhsa_float_denorm_mode_32 3
		.amdhsa_float_denorm_mode_16_64 3
		.amdhsa_fp16_overflow 0
		.amdhsa_workgroup_processor_mode 1
		.amdhsa_memory_ordered 1
		.amdhsa_forward_progress 0
		.amdhsa_round_robin_scheduling 0
		.amdhsa_exception_fp_ieee_invalid_op 0
		.amdhsa_exception_fp_denorm_src 0
		.amdhsa_exception_fp_ieee_div_zero 0
		.amdhsa_exception_fp_ieee_overflow 0
		.amdhsa_exception_fp_ieee_underflow 0
		.amdhsa_exception_fp_ieee_inexact 0
		.amdhsa_exception_int_div_zero 0
	.end_amdhsa_kernel
	.text
.Lfunc_end0:
	.size	fft_rtc_fwd_len3000_factors_10_3_10_10_wgs_100_tpt_100_halfLds_dp_ip_CI_unitstride_sbrr_dirReg, .Lfunc_end0-fft_rtc_fwd_len3000_factors_10_3_10_10_wgs_100_tpt_100_halfLds_dp_ip_CI_unitstride_sbrr_dirReg
                                        ; -- End function
	.section	.AMDGPU.csdata,"",@progbits
; Kernel info:
; codeLenInByte = 18264
; NumSgprs: 34
; NumVgprs: 237
; ScratchSize: 0
; MemoryBound: 1
; FloatMode: 240
; IeeeMode: 1
; LDSByteSize: 0 bytes/workgroup (compile time only)
; SGPRBlocks: 4
; VGPRBlocks: 29
; NumSGPRsForWavesPerEU: 34
; NumVGPRsForWavesPerEU: 237
; Occupancy: 6
; WaveLimiterHint : 1
; COMPUTE_PGM_RSRC2:SCRATCH_EN: 0
; COMPUTE_PGM_RSRC2:USER_SGPR: 2
; COMPUTE_PGM_RSRC2:TRAP_HANDLER: 0
; COMPUTE_PGM_RSRC2:TGID_X_EN: 1
; COMPUTE_PGM_RSRC2:TGID_Y_EN: 0
; COMPUTE_PGM_RSRC2:TGID_Z_EN: 0
; COMPUTE_PGM_RSRC2:TIDIG_COMP_CNT: 0
	.text
	.p2alignl 7, 3214868480
	.fill 96, 4, 3214868480
	.type	__hip_cuid_20044076c9da8896,@object ; @__hip_cuid_20044076c9da8896
	.section	.bss,"aw",@nobits
	.globl	__hip_cuid_20044076c9da8896
__hip_cuid_20044076c9da8896:
	.byte	0                               ; 0x0
	.size	__hip_cuid_20044076c9da8896, 1

	.ident	"AMD clang version 19.0.0git (https://github.com/RadeonOpenCompute/llvm-project roc-6.4.0 25133 c7fe45cf4b819c5991fe208aaa96edf142730f1d)"
	.section	".note.GNU-stack","",@progbits
	.addrsig
	.addrsig_sym __hip_cuid_20044076c9da8896
	.amdgpu_metadata
---
amdhsa.kernels:
  - .args:
      - .actual_access:  read_only
        .address_space:  global
        .offset:         0
        .size:           8
        .value_kind:     global_buffer
      - .offset:         8
        .size:           8
        .value_kind:     by_value
      - .actual_access:  read_only
        .address_space:  global
        .offset:         16
        .size:           8
        .value_kind:     global_buffer
      - .actual_access:  read_only
        .address_space:  global
        .offset:         24
        .size:           8
        .value_kind:     global_buffer
      - .offset:         32
        .size:           8
        .value_kind:     by_value
      - .actual_access:  read_only
        .address_space:  global
        .offset:         40
        .size:           8
        .value_kind:     global_buffer
      - .actual_access:  read_only
        .address_space:  global
        .offset:         48
        .size:           8
        .value_kind:     global_buffer
      - .offset:         56
        .size:           4
        .value_kind:     by_value
      - .actual_access:  read_only
        .address_space:  global
        .offset:         64
        .size:           8
        .value_kind:     global_buffer
      - .actual_access:  read_only
        .address_space:  global
        .offset:         72
        .size:           8
        .value_kind:     global_buffer
      - .address_space:  global
        .offset:         80
        .size:           8
        .value_kind:     global_buffer
    .group_segment_fixed_size: 0
    .kernarg_segment_align: 8
    .kernarg_segment_size: 88
    .language:       OpenCL C
    .language_version:
      - 2
      - 0
    .max_flat_workgroup_size: 100
    .name:           fft_rtc_fwd_len3000_factors_10_3_10_10_wgs_100_tpt_100_halfLds_dp_ip_CI_unitstride_sbrr_dirReg
    .private_segment_fixed_size: 0
    .sgpr_count:     34
    .sgpr_spill_count: 0
    .symbol:         fft_rtc_fwd_len3000_factors_10_3_10_10_wgs_100_tpt_100_halfLds_dp_ip_CI_unitstride_sbrr_dirReg.kd
    .uniform_work_group_size: 1
    .uses_dynamic_stack: false
    .vgpr_count:     237
    .vgpr_spill_count: 0
    .wavefront_size: 32
    .workgroup_processor_mode: 1
amdhsa.target:   amdgcn-amd-amdhsa--gfx1201
amdhsa.version:
  - 1
  - 2
...

	.end_amdgpu_metadata
